;; amdgpu-corpus repo=ROCm/rocFFT kind=compiled arch=gfx906 opt=O3
	.text
	.amdgcn_target "amdgcn-amd-amdhsa--gfx906"
	.amdhsa_code_object_version 6
	.protected	bluestein_single_back_len1100_dim1_dp_op_CI_CI ; -- Begin function bluestein_single_back_len1100_dim1_dp_op_CI_CI
	.globl	bluestein_single_back_len1100_dim1_dp_op_CI_CI
	.p2align	8
	.type	bluestein_single_back_len1100_dim1_dp_op_CI_CI,@function
bluestein_single_back_len1100_dim1_dp_op_CI_CI: ; @bluestein_single_back_len1100_dim1_dp_op_CI_CI
; %bb.0:
	s_load_dwordx4 s[16:19], s[4:5], 0x28
	s_mov_b64 s[46:47], s[2:3]
	v_mul_u32_u24_e32 v1, 0x254, v0
	s_mov_b64 s[44:45], s[0:1]
	v_add_u32_sdwa v251, s6, v1 dst_sel:DWORD dst_unused:UNUSED_PAD src0_sel:DWORD src1_sel:WORD_1
	v_mov_b32_e32 v252, 0
	s_add_u32 s44, s44, s7
	s_waitcnt lgkmcnt(0)
	v_cmp_gt_u64_e32 vcc, s[16:17], v[251:252]
	s_addc_u32 s45, s45, 0
	s_and_saveexec_b64 s[0:1], vcc
	s_cbranch_execz .LBB0_10
; %bb.1:
	s_load_dwordx4 s[8:11], s[4:5], 0x18
	s_movk_i32 s6, 0x6e
	v_mul_lo_u16_sdwa v1, v1, s6 dst_sel:DWORD dst_unused:UNUSED_PAD src0_sel:WORD_1 src1_sel:DWORD
	v_sub_u16_e32 v188, v0, v1
	v_lshlrev_b32_e32 v221, 4, v188
	s_waitcnt lgkmcnt(0)
	s_load_dwordx4 s[12:15], s[8:9], 0x0
	s_movk_i32 s9, 0x2000
	s_waitcnt lgkmcnt(0)
	v_mad_u64_u32 v[0:1], s[0:1], s14, v251, 0
	v_mad_u64_u32 v[2:3], s[0:1], s12, v188, 0
	s_mul_i32 s7, s13, 0x2260
	s_mul_hi_u32 s8, s12, 0x2260
	v_mad_u64_u32 v[4:5], s[0:1], s15, v251, v[1:2]
	s_add_i32 s7, s8, s7
	s_mul_i32 s8, s12, 0x2260
	v_mad_u64_u32 v[5:6], s[0:1], s13, v188, v[3:4]
	v_mov_b32_e32 v1, v4
	v_lshlrev_b64 v[0:1], 4, v[0:1]
	s_load_dwordx4 s[0:3], s[4:5], 0x0
	v_mov_b32_e32 v6, s19
	v_mov_b32_e32 v3, v5
	v_add_co_u32_e32 v4, vcc, s18, v0
	v_addc_co_u32_e32 v5, vcc, v6, v1, vcc
	v_lshlrev_b64 v[0:1], 4, v[2:3]
	s_waitcnt lgkmcnt(0)
	v_mov_b32_e32 v2, s1
	v_add_co_u32_e32 v0, vcc, v4, v0
	v_addc_co_u32_e32 v1, vcc, v5, v1, vcc
	v_add_co_u32_e32 v18, vcc, s0, v221
	v_addc_co_u32_e32 v19, vcc, 0, v2, vcc
	v_mov_b32_e32 v3, s7
	v_add_co_u32_e32 v2, vcc, s8, v0
	v_addc_co_u32_e32 v3, vcc, v1, v3, vcc
	v_add_co_u32_e32 v8, vcc, s9, v18
	s_mul_i32 s9, s13, 0xffffe480
	s_mul_hi_u32 s13, s12, 0xffffe480
	s_sub_i32 s13, s13, s12
	v_addc_co_u32_e32 v9, vcc, 0, v19, vcc
	s_add_i32 s9, s13, s9
	s_mulk_i32 s12, 0xe480
	global_load_dwordx4 v[40:43], v[0:1], off
	global_load_dwordx4 v[44:47], v[2:3], off
	v_mov_b32_e32 v0, s9
	v_add_co_u32_e32 v10, vcc, s12, v2
	v_addc_co_u32_e32 v11, vcc, v3, v0, vcc
	v_mov_b32_e32 v0, s7
	v_add_co_u32_e32 v16, vcc, s8, v10
	global_load_dwordx4 v[36:39], v221, s[0:1]
	global_load_dwordx4 v[233:236], v221, s[0:1] offset:1760
	v_addc_co_u32_e32 v17, vcc, v11, v0, vcc
	global_load_dwordx4 v[48:51], v[10:11], off
	global_load_dwordx4 v[52:55], v[16:17], off
	global_load_dwordx4 v[12:15], v[8:9], off offset:608
	global_load_dwordx4 v[4:7], v[8:9], off offset:2368
	v_mov_b32_e32 v0, s9
	v_add_co_u32_e32 v16, vcc, s12, v16
	v_addc_co_u32_e32 v17, vcc, v17, v0, vcc
	global_load_dwordx4 v[56:59], v[16:17], off
	global_load_dwordx4 v[252:255], v221, s[0:1] offset:3520
	v_mov_b32_e32 v0, s7
	v_add_co_u32_e32 v16, vcc, s8, v16
	v_addc_co_u32_e32 v17, vcc, v17, v0, vcc
	s_movk_i32 s13, 0x3000
	v_add_co_u32_e32 v80, vcc, s13, v18
	v_addc_co_u32_e32 v81, vcc, 0, v19, vcc
	global_load_dwordx4 v[60:63], v[16:17], off
	v_mov_b32_e32 v0, s9
	v_add_co_u32_e32 v16, vcc, s12, v16
	v_addc_co_u32_e32 v17, vcc, v17, v0, vcc
	s_movk_i32 s13, 0x1000
	v_add_co_u32_e32 v24, vcc, s13, v18
	v_addc_co_u32_e32 v25, vcc, 0, v19, vcc
	v_mov_b32_e32 v0, s7
	v_add_co_u32_e32 v20, vcc, s8, v16
	v_addc_co_u32_e32 v21, vcc, v17, v0, vcc
	v_mov_b32_e32 v0, s9
	;; [unrolled: 3-line block ×3, first 2 shown]
	v_add_co_u32_e32 v82, vcc, s8, v26
	v_addc_co_u32_e32 v83, vcc, v27, v0, vcc
	global_load_dwordx4 v[64:67], v[16:17], off
	global_load_dwordx4 v[68:71], v[20:21], off
	global_load_dwordx4 v[28:31], v[80:81], off offset:32
	s_nop 0
	global_load_dwordx4 v[16:19], v[80:81], off offset:1792
	global_load_dwordx4 v[72:75], v[26:27], off
	global_load_dwordx4 v[32:35], v[24:25], off offset:1184
	global_load_dwordx4 v[20:23], v[24:25], off offset:2944
	global_load_dwordx4 v[76:79], v[82:83], off
	s_nop 0
	global_load_dwordx4 v[24:27], v[80:81], off offset:3552
	v_add_co_u32_e32 v203, vcc, s6, v188
	v_lshlrev_b32_e32 v0, 1, v188
	v_lshlrev_b32_e32 v9, 5, v188
	;; [unrolled: 1-line block ×3, first 2 shown]
	v_add_u32_e32 v1, 0x1b8, v0
	v_lshlrev_b32_e32 v2, 4, v0
	v_add_u32_e32 v3, 0x294, v0
	v_add_u32_e32 v96, 0x370, v0
	v_lshlrev_b32_e32 v10, 4, v1
	v_lshlrev_b32_e32 v11, 4, v3
	s_movk_i32 s6, 0xfc
	v_lshlrev_b32_e32 v97, 1, v203
	s_load_dwordx2 s[4:5], s[4:5], 0x38
	s_waitcnt vmcnt(17)
	v_mul_f64 v[80:81], v[42:43], v[38:39]
	v_mul_f64 v[82:83], v[40:41], v[38:39]
	s_waitcnt vmcnt(13)
	v_mul_f64 v[84:85], v[46:47], v[14:15]
	v_mul_f64 v[86:87], v[44:45], v[14:15]
	v_fma_f64 v[40:41], v[40:41], v[36:37], v[80:81]
	v_fma_f64 v[42:43], v[42:43], v[36:37], -v[82:83]
	s_waitcnt vmcnt(10)
	v_mul_f64 v[80:81], v[58:59], v[254:255]
	v_fma_f64 v[44:45], v[44:45], v[12:13], v[84:85]
	buffer_store_dword v12, off, s[44:47], 0 ; 4-byte Folded Spill
	s_nop 0
	buffer_store_dword v13, off, s[44:47], 0 offset:4 ; 4-byte Folded Spill
	buffer_store_dword v14, off, s[44:47], 0 offset:8 ; 4-byte Folded Spill
	;; [unrolled: 1-line block ×3, first 2 shown]
	s_load_dwordx4 s[8:11], s[10:11], 0x0
	v_mul_f64 v[82:83], v[56:57], v[254:255]
	s_waitcnt vmcnt(10)
	v_mul_f64 v[84:85], v[62:63], v[30:31]
	v_fma_f64 v[46:47], v[46:47], v[12:13], -v[86:87]
	ds_write_b128 v221, v[40:43]
	ds_write_b128 v221, v[44:47] offset:8800
	v_mul_f64 v[40:41], v[50:51], v[235:236]
	v_mul_f64 v[42:43], v[48:49], v[235:236]
	;; [unrolled: 1-line block ×5, first 2 shown]
	v_lshlrev_b32_e32 v12, 4, v96
	v_fma_f64 v[40:41], v[48:49], v[233:234], v[40:41]
	v_fma_f64 v[42:43], v[50:51], v[233:234], -v[42:43]
	v_fma_f64 v[48:49], v[56:57], v[252:253], v[80:81]
	v_fma_f64 v[50:51], v[58:59], v[252:253], -v[82:83]
	s_waitcnt vmcnt(7)
	v_mul_f64 v[56:57], v[66:67], v[34:35]
	v_mul_f64 v[58:59], v[64:65], v[34:35]
	v_fma_f64 v[44:45], v[52:53], v[4:5], v[44:45]
	v_fma_f64 v[46:47], v[54:55], v[4:5], -v[46:47]
	v_fma_f64 v[52:53], v[60:61], v[28:29], v[84:85]
	v_fma_f64 v[54:55], v[62:63], v[28:29], -v[86:87]
	v_mul_f64 v[60:61], v[70:71], v[18:19]
	v_mul_f64 v[62:63], v[68:69], v[18:19]
	s_waitcnt vmcnt(6)
	v_mul_f64 v[80:81], v[74:75], v[22:23]
	v_mul_f64 v[82:83], v[72:73], v[22:23]
	s_waitcnt vmcnt(4)
	v_mul_f64 v[84:85], v[78:79], v[26:27]
	v_mul_f64 v[86:87], v[76:77], v[26:27]
	v_fma_f64 v[56:57], v[64:65], v[32:33], v[56:57]
	v_fma_f64 v[58:59], v[66:67], v[32:33], -v[58:59]
	v_fma_f64 v[60:61], v[68:69], v[16:17], v[60:61]
	v_fma_f64 v[62:63], v[70:71], v[16:17], -v[62:63]
	;; [unrolled: 2-line block ×4, first 2 shown]
	ds_write_b128 v221, v[40:43] offset:1760
	ds_write_b128 v221, v[44:47] offset:10560
	;; [unrolled: 1-line block ×8, first 2 shown]
	s_waitcnt vmcnt(0) lgkmcnt(0)
	s_barrier
	ds_read_b128 v[40:43], v221 offset:8800
	ds_read_b128 v[44:47], v221
	ds_read_b128 v[48:51], v221 offset:1760
	ds_read_b128 v[52:55], v221 offset:7040
	ds_read_b128 v[56:59], v221 offset:10560
	ds_read_b128 v[60:63], v221 offset:12320
	ds_read_b128 v[64:67], v221 offset:3520
	ds_read_b128 v[68:71], v221 offset:5280
	ds_read_b128 v[72:75], v221 offset:14080
	ds_read_b128 v[76:79], v221 offset:15840
	s_waitcnt lgkmcnt(0)
	v_add_f64 v[60:61], v[64:65], -v[60:61]
	v_add_f64 v[40:41], v[44:45], -v[40:41]
	;; [unrolled: 1-line block ×10, first 2 shown]
	v_fma_f64 v[44:45], v[44:45], 2.0, -v[40:41]
	v_fma_f64 v[46:47], v[46:47], 2.0, -v[42:43]
	;; [unrolled: 1-line block ×10, first 2 shown]
	s_barrier
	ds_write_b128 v9, v[44:47]
	ds_write_b128 v9, v[40:43] offset:16
	ds_write_b128 v8, v[48:51]
	ds_write_b128 v8, v[56:59] offset:16
	ds_write_b128 v2, v[64:67] offset:7040
	;; [unrolled: 1-line block ×7, first 2 shown]
	v_and_b32_e32 v2, 1, v188
	v_lshlrev_b32_e32 v40, 4, v2
	s_waitcnt lgkmcnt(0)
	s_barrier
	global_load_dwordx4 v[128:131], v40, s[2:3]
	ds_read_b128 v[40:43], v221 offset:8800
	ds_read_b128 v[48:51], v221
	ds_read_b128 v[56:59], v221 offset:1760
	ds_read_b128 v[44:47], v221 offset:10560
	;; [unrolled: 1-line block ×8, first 2 shown]
	v_and_or_b32 v0, v0, s6, v2
	s_movk_i32 s6, 0x1fc
	v_lshlrev_b32_e32 v13, 4, v0
	v_and_or_b32 v0, v97, s6, v2
	s_movk_i32 s6, 0x3fc
	v_lshlrev_b32_e32 v14, 4, v0
	v_and_or_b32 v0, v1, s6, v2
	v_lshlrev_b32_e32 v15, 4, v0
	v_and_or_b32 v0, v3, s6, v2
	s_movk_i32 s6, 0x7fc
	v_lshlrev_b32_e32 v219, 4, v0
	v_and_or_b32 v0, v96, s6, v2
	s_movk_i32 s6, 0x64
	v_lshlrev_b32_e32 v220, 4, v0
	v_cmp_gt_u16_e32 vcc, s6, v188
	s_waitcnt vmcnt(0) lgkmcnt(0)
	s_barrier
	v_mul_f64 v[80:81], v[42:43], v[130:131]
	v_mul_f64 v[82:83], v[40:41], v[130:131]
	;; [unrolled: 1-line block ×8, first 2 shown]
	v_fma_f64 v[40:41], v[40:41], v[128:129], -v[80:81]
	v_fma_f64 v[42:43], v[42:43], v[128:129], v[82:83]
	v_fma_f64 v[80:81], v[44:45], v[128:129], -v[84:85]
	v_fma_f64 v[82:83], v[46:47], v[128:129], v[86:87]
	v_mul_f64 v[84:85], v[54:55], v[130:131]
	v_mul_f64 v[86:87], v[52:53], v[130:131]
	v_fma_f64 v[64:65], v[64:65], v[128:129], -v[88:89]
	v_fma_f64 v[66:67], v[66:67], v[128:129], v[90:91]
	v_add_f64 v[44:45], v[48:49], -v[40:41]
	v_add_f64 v[46:47], v[50:51], -v[42:43]
	v_fma_f64 v[76:77], v[76:77], v[128:129], -v[92:93]
	v_fma_f64 v[78:79], v[78:79], v[128:129], v[94:95]
	v_fma_f64 v[52:53], v[52:53], v[128:129], -v[84:85]
	v_fma_f64 v[54:55], v[54:55], v[128:129], v[86:87]
	v_add_f64 v[64:65], v[68:69], -v[64:65]
	v_add_f64 v[66:67], v[70:71], -v[66:67]
	v_fma_f64 v[40:41], v[48:49], 2.0, -v[44:45]
	v_fma_f64 v[42:43], v[50:51], 2.0, -v[46:47]
	v_add_f64 v[48:49], v[56:57], -v[80:81]
	v_add_f64 v[50:51], v[58:59], -v[82:83]
	;; [unrolled: 1-line block ×6, first 2 shown]
	v_fma_f64 v[68:69], v[68:69], 2.0, -v[64:65]
	v_fma_f64 v[70:71], v[70:71], 2.0, -v[66:67]
	;; [unrolled: 1-line block ×8, first 2 shown]
	ds_write_b128 v13, v[40:43]
	ds_write_b128 v13, v[44:47] offset:32
	ds_write_b128 v14, v[56:59]
	ds_write_b128 v14, v[48:51] offset:32
	;; [unrolled: 2-line block ×5, first 2 shown]
	s_waitcnt lgkmcnt(0)
	s_barrier
	s_waitcnt lgkmcnt(0)
                                        ; implicit-def: $vgpr80_vgpr81
	s_and_saveexec_b64 s[6:7], vcc
	s_cbranch_execz .LBB0_3
; %bb.2:
	ds_read_b128 v[40:43], v221
	ds_read_b128 v[44:47], v221 offset:1600
	ds_read_b128 v[56:59], v221 offset:3200
	;; [unrolled: 1-line block ×10, first 2 shown]
.LBB0_3:
	s_or_b64 exec, exec, s[6:7]
	v_mov_b32_e32 v85, s3
	v_and_b32_e32 v249, 3, v188
	s_movk_i32 s6, 0xa0
	v_mov_b32_e32 v84, s2
	v_mad_u64_u32 v[84:85], s[6:7], v249, s6, v[84:85]
	global_load_dwordx4 v[104:107], v[84:85], off offset:32
	global_load_dwordx4 v[112:115], v[84:85], off offset:48
	;; [unrolled: 1-line block ×10, first 2 shown]
	s_mov_b32 s16, 0xf8bb580b
	s_mov_b32 s17, 0xbfe14ced
	;; [unrolled: 1-line block ×20, first 2 shown]
	v_lshrrev_b32_e32 v222, 2, v188
	s_waitcnt vmcnt(0) lgkmcnt(0)
	s_barrier
	v_mul_f64 v[84:85], v[46:47], v[106:107]
	v_mul_f64 v[86:87], v[44:45], v[106:107]
	;; [unrolled: 1-line block ×11, first 2 shown]
	v_fma_f64 v[96:97], v[44:45], v[104:105], -v[84:85]
	v_fma_f64 v[160:161], v[46:47], v[104:105], v[86:87]
	v_mul_f64 v[148:149], v[54:55], v[146:147]
	v_mul_f64 v[150:151], v[52:53], v[146:147]
	v_fma_f64 v[44:45], v[82:83], v[108:109], v[158:159]
	v_fma_f64 v[46:47], v[80:81], v[108:109], -v[164:165]
	v_mul_f64 v[152:153], v[70:71], v[142:143]
	v_mul_f64 v[168:169], v[74:75], v[126:127]
	;; [unrolled: 1-line block ×3, first 2 shown]
	v_fma_f64 v[90:91], v[56:57], v[112:113], -v[88:89]
	v_fma_f64 v[92:93], v[58:59], v[112:113], v[92:93]
	v_fma_f64 v[86:87], v[48:49], v[116:117], -v[94:95]
	v_fma_f64 v[88:89], v[50:51], v[116:117], v[98:99]
	v_fma_f64 v[48:49], v[78:79], v[120:121], v[166:167]
	v_fma_f64 v[50:51], v[76:77], v[120:121], -v[172:173]
	v_add_f64 v[180:181], v[160:161], -v[44:45]
	v_add_f64 v[178:179], v[96:97], -v[46:47]
	v_mul_f64 v[102:103], v[60:61], v[134:135]
	v_mul_f64 v[154:155], v[68:69], v[142:143]
	;; [unrolled: 1-line block ×4, first 2 shown]
	v_fma_f64 v[82:83], v[60:61], v[132:133], -v[100:101]
	v_fma_f64 v[78:79], v[52:53], v[144:145], -v[148:149]
	v_fma_f64 v[80:81], v[54:55], v[144:145], v[150:151]
	v_fma_f64 v[60:61], v[68:69], v[140:141], -v[152:153]
	v_fma_f64 v[54:55], v[74:75], v[124:125], v[170:171]
	v_fma_f64 v[52:53], v[72:73], v[124:125], -v[168:169]
	v_add_f64 v[68:69], v[96:97], v[46:47]
	v_add_f64 v[170:171], v[92:93], -v[48:49]
	v_add_f64 v[186:187], v[160:161], v[44:45]
	v_add_f64 v[172:173], v[90:91], -v[50:51]
	v_mul_f64 v[74:75], v[180:181], s[16:17]
	v_mul_f64 v[100:101], v[178:179], s[16:17]
	v_fma_f64 v[84:85], v[62:63], v[132:133], v[102:103]
	v_fma_f64 v[62:63], v[70:71], v[140:141], v[154:155]
	v_fma_f64 v[56:57], v[64:65], v[136:137], -v[156:157]
	v_fma_f64 v[58:59], v[66:67], v[136:137], v[162:163]
	v_add_f64 v[70:71], v[90:91], v[50:51]
	v_add_f64 v[184:185], v[92:93], v[48:49]
	v_add_f64 v[166:167], v[88:89], -v[54:55]
	v_add_f64 v[164:165], v[86:87], -v[52:53]
	v_mul_f64 v[76:77], v[170:171], s[14:15]
	v_mul_f64 v[98:99], v[172:173], s[14:15]
	v_fma_f64 v[102:103], v[68:69], s[6:7], v[74:75]
	v_fma_f64 v[148:149], v[186:187], s[6:7], -v[100:101]
	v_add_f64 v[66:67], v[86:87], v[52:53]
	v_add_f64 v[182:183], v[88:89], v[54:55]
	v_add_f64 v[162:163], v[84:85], -v[58:59]
	v_add_f64 v[168:169], v[82:83], -v[56:57]
	v_mul_f64 v[72:73], v[166:167], s[28:29]
	v_mul_f64 v[94:95], v[164:165], s[28:29]
	v_fma_f64 v[150:151], v[70:71], s[12:13], v[76:77]
	v_fma_f64 v[154:155], v[184:185], s[12:13], -v[98:99]
	v_add_f64 v[102:103], v[40:41], v[102:103]
	v_add_f64 v[148:149], v[42:43], v[148:149]
	;; [unrolled: 1-line block ×4, first 2 shown]
	v_add_f64 v[174:175], v[80:81], -v[62:63]
	v_add_f64 v[176:177], v[78:79], -v[60:61]
	v_mul_f64 v[152:153], v[162:163], s[24:25]
	v_mul_f64 v[156:157], v[168:169], s[24:25]
	v_fma_f64 v[204:205], v[66:67], s[18:19], v[72:73]
	v_fma_f64 v[206:207], v[182:183], s[18:19], -v[94:95]
	v_add_f64 v[150:151], v[150:151], v[102:103]
	v_add_f64 v[148:149], v[154:155], v[148:149]
	;; [unrolled: 1-line block ×4, first 2 shown]
	v_mul_f64 v[154:155], v[174:175], s[26:27]
	v_mul_f64 v[158:159], v[176:177], s[26:27]
	v_fma_f64 v[208:209], v[64:65], s[20:21], v[152:153]
	v_fma_f64 v[210:211], v[189:190], s[20:21], -v[156:157]
	v_add_f64 v[150:151], v[204:205], v[150:151]
	v_add_f64 v[148:149], v[206:207], v[148:149]
	v_fma_f64 v[204:205], v[102:103], s[30:31], v[154:155]
	v_fma_f64 v[206:207], v[191:192], s[30:31], -v[158:159]
	v_add_f64 v[150:151], v[208:209], v[150:151]
	v_add_f64 v[208:209], v[210:211], v[148:149]
	;; [unrolled: 1-line block ×4, first 2 shown]
	s_and_saveexec_b64 s[22:23], vcc
	s_cbranch_execz .LBB0_5
; %bb.4:
	v_mul_f64 v[0:1], v[68:69], s[6:7]
	v_mul_f64 v[204:205], v[186:187], s[30:31]
	s_mov_b32 s37, 0x3fd207e7
	s_mov_b32 s36, s26
	v_mul_f64 v[208:209], v[184:185], s[6:7]
	v_mul_f64 v[214:215], v[180:181], s[26:27]
	s_mov_b32 s39, 0x3fe14ced
	s_mov_b32 s38, s16
	buffer_store_dword v0, off, s[44:47], 0 offset:36 ; 4-byte Folded Spill
	s_nop 0
	buffer_store_dword v1, off, s[44:47], 0 offset:40 ; 4-byte Folded Spill
	v_mul_f64 v[0:1], v[186:187], s[6:7]
	v_fma_f64 v[210:211], v[178:179], s[36:37], v[204:205]
	v_mul_f64 v[243:244], v[170:171], s[38:39]
	v_fma_f64 v[241:242], v[172:173], s[16:17], v[208:209]
	v_fma_f64 v[245:246], v[68:69], s[30:31], v[214:215]
	v_fma_f64 v[204:205], v[178:179], s[26:27], v[204:205]
	s_mov_b32 s41, 0x3fe82f19
	s_mov_b32 s40, s24
	buffer_store_dword v0, off, s[44:47], 0 offset:52 ; 4-byte Folded Spill
	s_nop 0
	buffer_store_dword v1, off, s[44:47], 0 offset:56 ; 4-byte Folded Spill
	v_mul_f64 v[0:1], v[70:71], s[12:13]
	v_add_f64 v[210:211], v[42:43], v[210:211]
	v_mov_b32_e32 v239, v188
	v_mov_b32_e32 v225, v220
	;; [unrolled: 1-line block ×6, first 2 shown]
	buffer_store_dword v0, off, s[44:47], 0 offset:28 ; 4-byte Folded Spill
	s_nop 0
	buffer_store_dword v1, off, s[44:47], 0 offset:32 ; 4-byte Folded Spill
	v_mul_f64 v[0:1], v[184:185], s[12:13]
	v_mov_b32_e32 v12, v252
	v_mul_f64 v[206:207], v[189:190], s[12:13]
	v_add_f64 v[210:211], v[241:242], v[210:211]
	v_mul_f64 v[241:242], v[166:167], s[24:25]
	v_mov_b32_e32 v13, v253
	v_mov_b32_e32 v14, v254
	;; [unrolled: 1-line block ×3, first 2 shown]
	buffer_store_dword v0, off, s[44:47], 0 offset:44 ; 4-byte Folded Spill
	s_nop 0
	buffer_store_dword v1, off, s[44:47], 0 offset:48 ; 4-byte Folded Spill
	v_mul_f64 v[0:1], v[66:67], s[18:19]
	v_mov_b32_e32 v255, v249
	v_fma_f64 v[249:250], v[70:71], s[6:7], v[243:244]
	v_add_f64 v[245:246], v[40:41], v[245:246]
	v_fma_f64 v[208:209], v[172:173], s[38:39], v[208:209]
	v_add_f64 v[204:205], v[42:43], v[204:205]
	v_fma_f64 v[214:215], v[68:69], s[30:31], -v[214:215]
	v_mov_b32_e32 v229, v8
	buffer_store_dword v0, off, s[44:47], 0 offset:20 ; 4-byte Folded Spill
	s_nop 0
	buffer_store_dword v1, off, s[44:47], 0 offset:24 ; 4-byte Folded Spill
	v_mul_f64 v[0:1], v[182:183], s[18:19]
	v_mov_b32_e32 v226, v10
	v_mov_b32_e32 v228, v11
	;; [unrolled: 1-line block ×6, first 2 shown]
	s_mov_b32 s43, 0x3fed1bb4
	buffer_store_dword v0, off, s[44:47], 0 offset:76 ; 4-byte Folded Spill
	s_nop 0
	buffer_store_dword v1, off, s[44:47], 0 offset:80 ; 4-byte Folded Spill
	v_mul_f64 v[0:1], v[64:65], s[20:21]
	s_mov_b32 s42, s14
	v_mov_b32_e32 v4, v233
	v_mul_f64 v[212:213], v[191:192], s[18:19]
	v_fma_f64 v[216:217], v[168:169], s[14:15], v[206:207]
	v_mov_b32_e32 v5, v234
	v_mov_b32_e32 v6, v235
	;; [unrolled: 1-line block ×3, first 2 shown]
	buffer_store_dword v0, off, s[44:47], 0 offset:60 ; 4-byte Folded Spill
	s_nop 0
	buffer_store_dword v1, off, s[44:47], 0 offset:64 ; 4-byte Folded Spill
	v_mul_f64 v[0:1], v[189:190], s[20:21]
	v_mov_b32_e32 v233, v251
	v_mul_f64 v[251:252], v[162:163], s[42:43]
	v_fma_f64 v[253:254], v[66:67], s[20:21], v[241:242]
	v_add_f64 v[245:246], v[249:250], v[245:246]
	v_add_f64 v[204:205], v[208:209], v[204:205]
	v_fma_f64 v[243:244], v[70:71], s[6:7], -v[243:244]
	v_add_f64 v[214:215], v[40:41], v[214:215]
	buffer_store_dword v0, off, s[44:47], 0 offset:68 ; 4-byte Folded Spill
	s_nop 0
	buffer_store_dword v1, off, s[44:47], 0 offset:72 ; 4-byte Folded Spill
	buffer_store_dword v219, off, s[44:47], 0 offset:16 ; 4-byte Folded Spill
	v_mul_f64 v[218:219], v[182:183], s[20:21]
	s_mov_b32 s35, 0x3fefac9e
	s_mov_b32 s34, s28
	v_add_f64 v[245:246], v[253:254], v[245:246]
	v_fma_f64 v[206:207], v[168:169], s[42:43], v[206:207]
	v_fma_f64 v[241:242], v[66:67], s[20:21], -v[241:242]
	v_add_f64 v[214:215], v[243:244], v[214:215]
	v_mul_f64 v[223:224], v[170:171], s[34:35]
	v_fma_f64 v[247:248], v[164:165], s[40:41], v[218:219]
	v_fma_f64 v[218:219], v[164:165], s[24:25], v[218:219]
	v_mul_f64 v[199:200], v[166:167], s[16:17]
	v_add_f64 v[96:97], v[40:41], v[96:97]
	v_mul_f64 v[231:232], v[166:167], s[42:43]
	v_add_f64 v[160:161], v[42:43], v[160:161]
	v_add_f64 v[214:215], v[241:242], v[214:215]
	v_mul_f64 v[241:242], v[180:181], s[24:25]
	v_add_f64 v[208:209], v[247:248], v[210:211]
	v_mul_f64 v[247:248], v[174:175], s[28:29]
	v_fma_f64 v[210:211], v[64:65], s[12:13], v[251:252]
	v_add_f64 v[204:205], v[218:219], v[204:205]
	v_fma_f64 v[218:219], v[176:177], s[34:35], v[212:213]
	v_fma_f64 v[212:213], v[176:177], s[28:29], v[212:213]
	;; [unrolled: 1-line block ×4, first 2 shown]
	v_add_f64 v[208:209], v[216:217], v[208:209]
	v_fma_f64 v[216:217], v[102:103], s[18:19], v[247:248]
	v_add_f64 v[210:211], v[210:211], v[245:246]
	v_add_f64 v[243:244], v[206:207], v[204:205]
	v_fma_f64 v[241:242], v[68:69], s[20:21], -v[241:242]
	v_fma_f64 v[223:224], v[70:71], s[18:19], -v[223:224]
	v_fma_f64 v[0:1], v[66:67], s[6:7], v[199:200]
	v_add_f64 v[195:196], v[40:41], v[195:196]
	v_add_f64 v[206:207], v[218:219], v[208:209]
	v_fma_f64 v[208:209], v[64:65], s[12:13], -v[251:252]
	v_mul_f64 v[218:219], v[186:187], s[20:21]
	v_add_f64 v[204:205], v[216:217], v[210:211]
	v_add_f64 v[210:211], v[212:213], v[243:244]
	v_mul_f64 v[243:244], v[184:185], s[18:19]
	v_fma_f64 v[216:217], v[102:103], s[18:19], -v[247:248]
	v_mul_f64 v[247:248], v[182:183], s[6:7]
	v_mul_f64 v[212:213], v[189:190], s[30:31]
	v_add_f64 v[208:209], v[208:209], v[214:215]
	v_fma_f64 v[214:215], v[178:179], s[40:41], v[218:219]
	v_fma_f64 v[218:219], v[178:179], s[24:25], v[218:219]
	v_add_f64 v[241:242], v[40:41], v[241:242]
	v_fma_f64 v[193:194], v[172:173], s[28:29], v[243:244]
	v_fma_f64 v[243:244], v[172:173], s[34:35], v[243:244]
	;; [unrolled: 1-line block ×3, first 2 shown]
	v_add_f64 v[195:196], v[201:202], v[195:196]
	v_fma_f64 v[201:202], v[164:165], s[16:17], v[247:248]
	v_add_f64 v[214:215], v[42:43], v[214:215]
	v_add_f64 v[218:219], v[42:43], v[218:219]
	v_mul_f64 v[251:252], v[191:192], s[12:13]
	v_fma_f64 v[253:254], v[168:169], s[36:37], v[212:213]
	v_fma_f64 v[199:200], v[66:67], s[6:7], -v[199:200]
	v_add_f64 v[223:224], v[223:224], v[241:242]
	v_add_f64 v[0:1], v[0:1], v[195:196]
	v_fma_f64 v[195:196], v[168:169], s[26:27], v[212:213]
	v_add_f64 v[193:194], v[193:194], v[214:215]
	v_mul_f64 v[214:215], v[162:163], s[26:27]
	v_add_f64 v[218:219], v[243:244], v[218:219]
	v_fma_f64 v[212:213], v[176:177], s[14:15], v[251:252]
	v_add_f64 v[208:209], v[216:217], v[208:209]
	v_add_f64 v[199:200], v[199:200], v[223:224]
	v_fma_f64 v[223:224], v[176:177], s[42:43], v[251:252]
	v_add_f64 v[90:91], v[96:97], v[90:91]
	v_add_f64 v[193:194], v[197:198], v[193:194]
	v_mul_f64 v[197:198], v[174:175], s[42:43]
	v_fma_f64 v[241:242], v[64:65], s[30:31], v[214:215]
	v_add_f64 v[201:202], v[201:202], v[218:219]
	v_fma_f64 v[214:215], v[64:65], s[30:31], -v[214:215]
	v_mul_f64 v[243:244], v[170:171], s[36:37]
	v_fma_f64 v[2:3], v[66:67], s[12:13], v[231:232]
	v_add_f64 v[86:87], v[90:91], v[86:87]
	v_add_f64 v[193:194], v[253:254], v[193:194]
	v_fma_f64 v[218:219], v[102:103], s[12:13], v[197:198]
	v_add_f64 v[0:1], v[241:242], v[0:1]
	v_add_f64 v[195:196], v[195:196], v[201:202]
	v_mul_f64 v[201:202], v[186:187], s[18:19]
	v_fma_f64 v[197:198], v[102:103], s[12:13], -v[197:198]
	v_add_f64 v[199:200], v[214:215], v[199:200]
	v_add_f64 v[82:83], v[86:87], v[82:83]
	v_add_f64 v[214:215], v[212:213], v[193:194]
	v_mul_f64 v[193:194], v[180:181], s[28:29]
	v_add_f64 v[212:213], v[218:219], v[0:1]
	v_mul_f64 v[0:1], v[184:185], s[30:31]
	v_add_f64 v[218:219], v[223:224], v[195:196]
	v_fma_f64 v[195:196], v[178:179], s[34:35], v[201:202]
	v_add_f64 v[216:217], v[197:198], v[199:200]
	v_mul_f64 v[197:198], v[182:183], s[12:13]
	v_mul_f64 v[223:224], v[189:190], s[6:7]
	v_add_f64 v[78:79], v[82:83], v[78:79]
	v_fma_f64 v[201:202], v[178:179], s[28:29], v[201:202]
	v_fma_f64 v[241:242], v[172:173], s[26:27], v[0:1]
	;; [unrolled: 1-line block ×3, first 2 shown]
	v_add_f64 v[195:196], v[42:43], v[195:196]
	v_fma_f64 v[193:194], v[68:69], s[18:19], -v[193:194]
	v_fma_f64 v[253:254], v[164:165], s[14:15], v[197:198]
	v_fma_f64 v[251:252], v[168:169], s[38:39], v[223:224]
	v_fma_f64 v[0:1], v[172:173], s[36:37], v[0:1]
	v_add_f64 v[201:202], v[42:43], v[201:202]
	v_fma_f64 v[197:198], v[164:165], s[42:43], v[197:198]
	v_fma_f64 v[223:224], v[168:169], s[16:17], v[223:224]
	v_add_f64 v[195:196], v[241:242], v[195:196]
	v_fma_f64 v[241:242], v[70:71], s[30:31], -v[243:244]
	v_add_f64 v[193:194], v[40:41], v[193:194]
	v_mul_f64 v[180:181], v[180:181], s[14:15]
	v_add_f64 v[247:248], v[40:41], v[247:248]
	v_add_f64 v[0:1], v[0:1], v[201:202]
	v_fma_f64 v[201:202], v[66:67], s[12:13], -v[231:232]
	v_mul_f64 v[231:232], v[174:175], s[24:25]
	v_add_f64 v[195:196], v[253:254], v[195:196]
	v_mul_f64 v[96:97], v[166:167], s[36:37]
	v_add_f64 v[193:194], v[241:242], v[193:194]
	v_add_f64 v[92:93], v[160:161], v[92:93]
	v_fma_f64 v[237:238], v[70:71], s[30:31], v[243:244]
	v_add_f64 v[0:1], v[197:198], v[0:1]
	v_mul_f64 v[243:244], v[162:163], s[16:17]
	v_mul_f64 v[90:91], v[162:163], s[34:35]
	v_add_f64 v[195:196], v[251:252], v[195:196]
	v_mov_b32_e32 v251, v233
	v_mov_b32_e32 v236, v7
	;; [unrolled: 1-line block ×5, first 2 shown]
	buffer_load_dword v4, off, s[44:47], 0 offset:52 ; 4-byte Folded Reload
	buffer_load_dword v5, off, s[44:47], 0 offset:56 ; 4-byte Folded Reload
	v_add_f64 v[193:194], v[201:202], v[193:194]
	v_fma_f64 v[201:202], v[102:103], s[20:21], v[231:232]
	v_add_f64 v[0:1], v[223:224], v[0:1]
	v_fma_f64 v[223:224], v[102:103], s[20:21], -v[231:232]
	v_fma_f64 v[231:232], v[68:69], s[12:13], v[180:181]
	v_fma_f64 v[68:69], v[68:69], s[12:13], -v[180:181]
	v_add_f64 v[88:89], v[92:93], v[88:89]
	v_fma_f64 v[241:242], v[64:65], s[6:7], v[243:244]
	v_fma_f64 v[197:198], v[64:65], s[6:7], -v[243:244]
	v_add_f64 v[237:238], v[237:238], v[247:248]
	v_mul_f64 v[199:200], v[191:192], s[20:21]
	v_mul_f64 v[170:171], v[170:171], s[24:25]
	v_add_f64 v[166:167], v[40:41], v[231:232]
	v_add_f64 v[60:61], v[78:79], v[60:61]
	;; [unrolled: 1-line block ×3, first 2 shown]
	v_fma_f64 v[88:89], v[64:65], s[18:19], v[90:91]
	v_add_f64 v[193:194], v[197:198], v[193:194]
	v_add_f64 v[2:3], v[2:3], v[237:238]
	v_fma_f64 v[237:238], v[176:177], s[40:41], v[199:200]
	v_mul_f64 v[182:183], v[182:183], s[30:31]
	v_fma_f64 v[160:161], v[70:71], s[20:21], v[170:171]
	v_fma_f64 v[70:71], v[70:71], s[20:21], -v[170:171]
	v_add_f64 v[80:81], v[84:85], v[80:81]
	v_add_f64 v[56:57], v[60:61], v[56:57]
	v_fma_f64 v[92:93], v[66:67], s[30:31], v[96:97]
	v_add_f64 v[2:3], v[241:242], v[2:3]
	v_mul_f64 v[241:242], v[186:187], s[12:13]
	v_add_f64 v[186:187], v[237:238], v[195:196]
	v_mul_f64 v[195:196], v[184:185], s[20:21]
	v_fma_f64 v[66:67], v[66:67], s[30:31], -v[96:97]
	v_add_f64 v[62:63], v[80:81], v[62:63]
	v_fma_f64 v[199:200], v[176:177], s[24:25], v[199:200]
	v_add_f64 v[52:53], v[56:57], v[52:53]
	v_add_f64 v[184:185], v[201:202], v[2:3]
	v_fma_f64 v[2:3], v[178:179], s[42:43], v[241:242]
	v_fma_f64 v[178:179], v[178:179], s[14:15], v[241:242]
	v_mul_f64 v[201:202], v[189:190], s[18:19]
	v_add_f64 v[189:190], v[223:224], v[193:194]
	v_add_f64 v[58:59], v[62:63], v[58:59]
	v_fma_f64 v[62:63], v[64:65], s[18:19], -v[90:91]
	v_fma_f64 v[193:194], v[172:173], s[40:41], v[195:196]
	v_fma_f64 v[172:173], v[172:173], s[24:25], v[195:196]
	v_add_f64 v[2:3], v[42:43], v[2:3]
	v_add_f64 v[178:179], v[42:43], v[178:179]
	v_fma_f64 v[223:224], v[164:165], s[26:27], v[182:183]
	v_fma_f64 v[164:165], v[164:165], s[36:37], v[182:183]
	v_add_f64 v[54:55], v[58:59], v[54:55]
	v_mul_f64 v[245:246], v[102:103], s[30:31]
	v_mul_f64 v[249:250], v[191:192], s[30:31]
	;; [unrolled: 1-line block ×3, first 2 shown]
	v_add_f64 v[2:3], v[193:194], v[2:3]
	v_add_f64 v[172:173], v[172:173], v[178:179]
	v_add_f64 v[160:161], v[160:161], v[166:167]
	v_fma_f64 v[162:163], v[168:169], s[34:35], v[201:202]
	v_mul_f64 v[86:87], v[174:175], s[38:39]
	v_add_f64 v[191:192], v[199:200], v[0:1]
	v_fma_f64 v[199:200], v[168:169], s[28:29], v[201:202]
	v_add_f64 v[54:55], v[54:55], v[48:49]
	v_add_f64 v[2:3], v[223:224], v[2:3]
	;; [unrolled: 1-line block ×5, first 2 shown]
	v_fma_f64 v[160:161], v[176:177], s[38:39], v[197:198]
	v_fma_f64 v[58:59], v[102:103], s[6:7], -v[86:87]
	v_fma_f64 v[0:1], v[176:177], s[16:17], v[197:198]
	v_add_f64 v[52:53], v[54:55], v[44:45]
	v_add_f64 v[2:3], v[199:200], v[2:3]
	;; [unrolled: 1-line block ×4, first 2 shown]
	s_waitcnt vmcnt(0)
	v_add_f64 v[100:101], v[100:101], v[4:5]
	buffer_load_dword v4, off, s[44:47], 0 offset:36 ; 4-byte Folded Reload
	buffer_load_dword v5, off, s[44:47], 0 offset:40 ; 4-byte Folded Reload
	v_add_f64 v[42:43], v[42:43], v[100:101]
	s_waitcnt vmcnt(0)
	v_add_f64 v[74:75], v[4:5], -v[74:75]
	buffer_load_dword v4, off, s[44:47], 0 offset:44 ; 4-byte Folded Reload
	buffer_load_dword v5, off, s[44:47], 0 offset:48 ; 4-byte Folded Reload
	v_add_f64 v[74:75], v[40:41], v[74:75]
	v_add_f64 v[40:41], v[40:41], v[68:69]
	;; [unrolled: 1-line block ×4, first 2 shown]
	v_add_f64 v[66:67], v[245:246], -v[154:155]
	v_add_f64 v[40:41], v[62:63], v[40:41]
	v_fma_f64 v[62:63], v[102:103], s[6:7], v[86:87]
	v_add_f64 v[40:41], v[58:59], v[40:41]
	s_waitcnt vmcnt(0)
	v_add_f64 v[82:83], v[98:99], v[4:5]
	buffer_load_dword v4, off, s[44:47], 0 offset:28 ; 4-byte Folded Reload
	buffer_load_dword v5, off, s[44:47], 0 offset:32 ; 4-byte Folded Reload
	v_add_f64 v[42:43], v[82:83], v[42:43]
	s_waitcnt vmcnt(0)
	v_add_f64 v[76:77], v[4:5], -v[76:77]
	buffer_load_dword v4, off, s[44:47], 0 offset:76 ; 4-byte Folded Reload
	buffer_load_dword v5, off, s[44:47], 0 offset:80 ; 4-byte Folded Reload
	v_add_f64 v[60:61], v[76:77], v[74:75]
	s_waitcnt vmcnt(0)
	v_add_f64 v[68:69], v[94:95], v[4:5]
	buffer_load_dword v4, off, s[44:47], 0 offset:20 ; 4-byte Folded Reload
	buffer_load_dword v5, off, s[44:47], 0 offset:24 ; 4-byte Folded Reload
	v_add_f64 v[42:43], v[68:69], v[42:43]
	s_waitcnt vmcnt(0)
	v_add_f64 v[72:73], v[4:5], -v[72:73]
	buffer_load_dword v4, off, s[44:47], 0 offset:68 ; 4-byte Folded Reload
	buffer_load_dword v5, off, s[44:47], 0 offset:72 ; 4-byte Folded Reload
	v_add_f64 v[56:57], v[72:73], v[60:61]
	v_add_f64 v[60:61], v[158:159], v[249:250]
	v_mov_b32_e32 v249, v255
	v_mov_b32_e32 v255, v15
	;; [unrolled: 1-line block ×11, first 2 shown]
	s_waitcnt vmcnt(0)
	v_add_f64 v[64:65], v[156:157], v[4:5]
	buffer_load_dword v4, off, s[44:47], 0 offset:60 ; 4-byte Folded Reload
	buffer_load_dword v5, off, s[44:47], 0 offset:64 ; 4-byte Folded Reload
	v_add_f64 v[64:65], v[64:65], v[42:43]
	v_add_f64 v[42:43], v[160:161], v[162:163]
	;; [unrolled: 1-line block ×3, first 2 shown]
	s_waitcnt vmcnt(0)
	v_add_f64 v[68:69], v[4:5], -v[152:153]
	v_mov_b32_e32 v4, v8
	v_mov_b32_e32 v5, v9
	;; [unrolled: 1-line block ×7, first 2 shown]
	v_add_f64 v[56:57], v[68:69], v[56:57]
	v_add_f64 v[68:69], v[88:89], v[92:93]
	v_lshlrev_b32_e32 v9, 5, v188
	v_add_f64 v[46:47], v[66:67], v[56:57]
	v_add_f64 v[56:57], v[0:1], v[2:3]
	v_mul_u32_u24_e32 v0, 44, v222
	v_or_b32_e32 v0, v0, v249
	v_lshlrev_b32_e32 v0, 4, v0
	ds_write_b128 v0, v[50:53]
	ds_write_b128 v0, v[46:49] offset:64
	ds_write_b128 v0, v[40:43] offset:128
	;; [unrolled: 1-line block ×4, first 2 shown]
	buffer_load_dword v219, off, s[44:47], 0 offset:16 ; 4-byte Folded Reload
	v_add_f64 v[54:55], v[62:63], v[68:69]
	ds_write_b128 v0, v[208:211] offset:320
	ds_write_b128 v0, v[204:207] offset:384
	;; [unrolled: 1-line block ×6, first 2 shown]
.LBB0_5:
	s_or_b64 exec, exec, s[22:23]
	s_movk_i32 s6, 0xbb
	v_mul_lo_u16_sdwa v0, v188, s6 dst_sel:DWORD dst_unused:UNUSED_PAD src0_sel:BYTE_0 src1_sel:DWORD
	v_lshrrev_b16_e32 v204, 13, v0
	v_mul_lo_u16_e32 v0, 44, v204
	v_sub_u16_e32 v0, v188, v0
	v_and_b32_e32 v205, 0xff, v0
	v_lshlrev_b32_e32 v0, 6, v205
	s_waitcnt vmcnt(0) lgkmcnt(0)
	s_barrier
	global_load_dwordx4 v[48:51], v0, s[2:3] offset:688
	global_load_dwordx4 v[56:59], v0, s[2:3] offset:672
	;; [unrolled: 1-line block ×4, first 2 shown]
	v_mul_lo_u16_sdwa v0, v203, s6 dst_sel:DWORD dst_unused:UNUSED_PAD src0_sel:BYTE_0 src1_sel:DWORD
	v_lshrrev_b16_e32 v206, 13, v0
	v_mul_lo_u16_e32 v0, 44, v206
	v_sub_u16_e32 v0, v203, v0
	v_and_b32_e32 v207, 0xff, v0
	v_lshlrev_b32_e32 v0, 6, v207
	global_load_dwordx4 v[68:71], v0, s[2:3] offset:672
	global_load_dwordx4 v[64:67], v0, s[2:3] offset:688
	;; [unrolled: 1-line block ×4, first 2 shown]
	ds_read_b128 v[72:75], v221
	ds_read_b128 v[76:79], v221 offset:1760
	ds_read_b128 v[80:83], v221 offset:3520
	;; [unrolled: 1-line block ×9, first 2 shown]
	s_mov_b32 s14, 0x134454ff
	s_mov_b32 s15, 0x3fee6f0e
	;; [unrolled: 1-line block ×10, first 2 shown]
	s_waitcnt vmcnt(0) lgkmcnt(0)
	s_barrier
	v_mul_f64 v[160:161], v[90:91], v[50:51]
	v_mul_f64 v[0:1], v[82:83], v[58:59]
	;; [unrolled: 1-line block ×12, first 2 shown]
	v_fma_f64 v[0:1], v[80:81], v[56:57], -v[0:1]
	v_fma_f64 v[2:3], v[82:83], v[56:57], v[2:3]
	v_fma_f64 v[80:81], v[88:89], v[48:49], -v[160:161]
	v_fma_f64 v[82:83], v[90:91], v[48:49], v[162:163]
	;; [unrolled: 2-line block ×4, first 2 shown]
	v_mul_f64 v[180:181], v[102:103], v[62:63]
	v_mul_f64 v[178:179], v[92:93], v[66:67]
	;; [unrolled: 1-line block ×4, first 2 shown]
	v_fma_f64 v[152:153], v[84:85], v[68:69], -v[172:173]
	v_fma_f64 v[154:155], v[86:87], v[68:69], v[174:175]
	v_fma_f64 v[160:161], v[92:93], v[64:65], -v[176:177]
	v_fma_f64 v[156:157], v[156:157], v[40:41], -v[184:185]
	v_add_f64 v[84:85], v[72:73], v[0:1]
	v_add_f64 v[86:87], v[80:81], v[88:89]
	v_add_f64 v[164:165], v[0:1], -v[80:81]
	v_add_f64 v[166:167], v[96:97], -v[88:89]
	v_add_f64 v[174:175], v[74:75], v[2:3]
	v_add_f64 v[176:177], v[82:83], v[90:91]
	;; [unrolled: 1-line block ×3, first 2 shown]
	v_fma_f64 v[100:101], v[100:101], v[60:61], -v[180:181]
	v_add_f64 v[168:169], v[0:1], v[96:97]
	v_fma_f64 v[162:163], v[94:95], v[64:65], v[178:179]
	v_fma_f64 v[102:103], v[102:103], v[60:61], v[182:183]
	v_add_f64 v[92:93], v[2:3], -v[98:99]
	v_add_f64 v[94:95], v[82:83], -v[90:91]
	;; [unrolled: 1-line block ×8, first 2 shown]
	v_add_f64 v[80:81], v[84:85], v[80:81]
	v_fma_f64 v[84:85], v[86:87], -0.5, v[72:73]
	v_add_f64 v[86:87], v[164:165], v[166:167]
	v_add_f64 v[82:83], v[174:175], v[82:83]
	v_fma_f64 v[166:167], v[176:177], -0.5, v[74:75]
	v_fma_f64 v[74:75], v[184:185], -0.5, v[74:75]
	v_fma_f64 v[158:159], v[158:159], v[40:41], v[186:187]
	v_add_f64 v[172:173], v[88:89], -v[96:97]
	v_add_f64 v[191:192], v[160:161], v[100:101]
	v_fma_f64 v[72:73], v[168:169], -0.5, v[72:73]
	v_add_f64 v[186:187], v[90:91], -v[98:99]
	v_add_f64 v[168:169], v[180:181], v[182:183]
	v_add_f64 v[80:81], v[80:81], v[88:89]
	v_fma_f64 v[88:89], v[92:93], s[14:15], v[84:85]
	v_fma_f64 v[84:85], v[92:93], s[18:19], v[84:85]
	v_add_f64 v[82:83], v[82:83], v[90:91]
	v_fma_f64 v[90:91], v[0:1], s[18:19], v[166:167]
	v_fma_f64 v[166:167], v[0:1], s[14:15], v[166:167]
	;; [unrolled: 1-line block ×4, first 2 shown]
	v_add_f64 v[189:190], v[76:77], v[152:153]
	v_add_f64 v[193:194], v[154:155], -v[158:159]
	v_add_f64 v[164:165], v[170:171], v[172:173]
	v_fma_f64 v[172:173], v[191:192], -0.5, v[76:77]
	v_fma_f64 v[174:175], v[94:95], s[18:19], v[72:73]
	v_fma_f64 v[176:177], v[94:95], s[14:15], v[72:73]
	v_add_f64 v[72:73], v[80:81], v[96:97]
	v_fma_f64 v[80:81], v[94:95], s[6:7], v[88:89]
	v_fma_f64 v[84:85], v[94:95], s[16:17], v[84:85]
	v_add_f64 v[74:75], v[82:83], v[98:99]
	v_fma_f64 v[82:83], v[178:179], s[16:17], v[90:91]
	v_fma_f64 v[90:91], v[178:179], s[6:7], v[166:167]
	;; [unrolled: 1-line block ×3, first 2 shown]
	v_add_f64 v[2:3], v[2:3], v[186:187]
	v_fma_f64 v[0:1], v[0:1], s[6:7], v[182:183]
	v_add_f64 v[170:171], v[189:190], v[160:161]
	v_add_f64 v[195:196], v[162:163], -v[102:103]
	v_add_f64 v[197:198], v[152:153], -v[160:161]
	v_add_f64 v[199:200], v[156:157], -v[100:101]
	v_add_f64 v[201:202], v[152:153], v[156:157]
	v_fma_f64 v[184:185], v[193:194], s[14:15], v[172:173]
	v_fma_f64 v[88:89], v[92:93], s[6:7], v[174:175]
	;; [unrolled: 1-line block ×8, first 2 shown]
	v_add_f64 v[0:1], v[162:163], v[102:103]
	v_add_f64 v[96:97], v[170:171], v[100:101]
	;; [unrolled: 1-line block ×3, first 2 shown]
	v_fma_f64 v[88:89], v[164:165], s[12:13], v[88:89]
	v_fma_f64 v[92:93], v[164:165], s[12:13], v[92:93]
	;; [unrolled: 1-line block ×3, first 2 shown]
	v_add_f64 v[164:165], v[197:198], v[199:200]
	v_fma_f64 v[166:167], v[201:202], -0.5, v[76:77]
	v_add_f64 v[174:175], v[78:79], v[154:155]
	v_fma_f64 v[82:83], v[168:169], s[12:13], v[82:83]
	v_fma_f64 v[2:3], v[193:194], s[18:19], v[172:173]
	v_add_f64 v[168:169], v[160:161], -v[152:153]
	v_add_f64 v[172:173], v[100:101], -v[156:157]
	v_fma_f64 v[0:1], v[0:1], -0.5, v[78:79]
	v_add_f64 v[152:153], v[152:153], -v[156:157]
	v_add_f64 v[100:101], v[160:161], -v[100:101]
	v_fma_f64 v[78:79], v[170:171], -0.5, v[78:79]
	v_add_f64 v[76:77], v[96:97], v[156:157]
	v_fma_f64 v[96:97], v[164:165], s[12:13], v[98:99]
	v_fma_f64 v[98:99], v[195:196], s[18:19], v[166:167]
	;; [unrolled: 1-line block ×3, first 2 shown]
	v_add_f64 v[166:167], v[174:175], v[162:163]
	v_add_f64 v[156:157], v[168:169], v[172:173]
	v_fma_f64 v[168:169], v[152:153], s[18:19], v[0:1]
	v_add_f64 v[170:171], v[154:155], -v[162:163]
	v_add_f64 v[172:173], v[158:159], -v[102:103]
	v_fma_f64 v[174:175], v[100:101], s[14:15], v[78:79]
	v_add_f64 v[154:155], v[162:163], -v[154:155]
	v_add_f64 v[162:163], v[102:103], -v[158:159]
	v_fma_f64 v[78:79], v[100:101], s[18:19], v[78:79]
	v_fma_f64 v[0:1], v[152:153], s[14:15], v[0:1]
	v_add_f64 v[102:103], v[166:167], v[102:103]
	v_fma_f64 v[98:99], v[193:194], s[6:7], v[98:99]
	v_fma_f64 v[166:167], v[100:101], s[16:17], v[168:169]
	v_add_f64 v[168:169], v[170:171], v[172:173]
	v_fma_f64 v[170:171], v[152:153], s[16:17], v[174:175]
	v_add_f64 v[162:163], v[154:155], v[162:163]
	v_fma_f64 v[160:161], v[193:194], s[16:17], v[160:161]
	v_fma_f64 v[172:173], v[152:153], s[6:7], v[78:79]
	;; [unrolled: 1-line block ×4, first 2 shown]
	v_add_f64 v[78:79], v[102:103], v[158:159]
	v_fma_f64 v[152:153], v[156:157], s[12:13], v[98:99]
	v_fma_f64 v[98:99], v[168:169], s[12:13], v[166:167]
	;; [unrolled: 1-line block ×7, first 2 shown]
	v_mul_u32_u24_e32 v0, 0xdc, v204
	v_add_lshl_u32 v225, v0, v205, 4
	v_mul_u32_u24_e32 v0, 0xdc, v206
	v_add_lshl_u32 v226, v0, v207, 4
	v_lshlrev_b32_e32 v0, 6, v188
	ds_write_b128 v225, v[72:75]
	ds_write_b128 v225, v[80:83] offset:704
	ds_write_b128 v225, v[88:91] offset:1408
	;; [unrolled: 1-line block ×4, first 2 shown]
	ds_write_b128 v226, v[76:79]
	ds_write_b128 v226, v[96:99] offset:704
	ds_write_b128 v226, v[152:155] offset:1408
	;; [unrolled: 1-line block ×4, first 2 shown]
	s_waitcnt lgkmcnt(0)
	s_barrier
	global_load_dwordx4 v[92:95], v0, s[2:3] offset:3488
	global_load_dwordx4 v[88:91], v0, s[2:3] offset:3504
	global_load_dwordx4 v[80:83], v0, s[2:3] offset:3520
	global_load_dwordx4 v[72:75], v0, s[2:3] offset:3536
	v_lshlrev_b32_e32 v0, 6, v203
	global_load_dwordx4 v[100:103], v0, s[2:3] offset:3488
	global_load_dwordx4 v[96:99], v0, s[2:3] offset:3504
	;; [unrolled: 1-line block ×4, first 2 shown]
	ds_read_b128 v[154:157], v221 offset:3520
	ds_read_b128 v[158:161], v221
	ds_read_b128 v[162:165], v221 offset:1760
	ds_read_b128 v[166:169], v221 offset:5280
	;; [unrolled: 1-line block ×4, first 2 shown]
	v_lshlrev_b32_e32 v0, 4, v188
	v_mov_b32_e32 v1, s1
	v_add_co_u32_e64 v152, s[0:1], s0, v0
	v_addc_co_u32_e64 v153, s[0:1], 0, v1, s[0:1]
	ds_read_b128 v[178:181], v221 offset:10560
	ds_read_b128 v[182:185], v221 offset:12320
	ds_read_b128 v[189:192], v221 offset:14080
	ds_read_b128 v[203:206], v221 offset:15840
	s_movk_i32 s0, 0x4000
	s_waitcnt vmcnt(7) lgkmcnt(9)
	v_mul_f64 v[0:1], v[156:157], v[94:95]
	v_mul_f64 v[2:3], v[154:155], v[94:95]
	s_waitcnt vmcnt(6) lgkmcnt(5)
	v_mul_f64 v[186:187], v[172:173], v[90:91]
	v_mul_f64 v[193:194], v[170:171], v[90:91]
	s_waitcnt vmcnt(5) lgkmcnt(3)
	v_mul_f64 v[195:196], v[180:181], v[82:83]
	v_fma_f64 v[0:1], v[154:155], v[92:93], -v[0:1]
	v_mul_f64 v[154:155], v[178:179], v[82:83]
	v_fma_f64 v[2:3], v[156:157], v[92:93], v[2:3]
	v_fma_f64 v[156:157], v[170:171], v[88:89], -v[186:187]
	s_waitcnt vmcnt(4) lgkmcnt(1)
	v_mul_f64 v[170:171], v[191:192], v[74:75]
	v_fma_f64 v[172:173], v[172:173], v[88:89], v[193:194]
	v_mul_f64 v[186:187], v[189:190], v[74:75]
	v_fma_f64 v[178:179], v[178:179], v[80:81], -v[195:196]
	s_waitcnt vmcnt(3)
	v_mul_f64 v[193:194], v[168:169], v[102:103]
	v_fma_f64 v[180:181], v[180:181], v[80:81], v[154:155]
	v_mul_f64 v[154:155], v[166:167], v[102:103]
	s_waitcnt vmcnt(2)
	v_mul_f64 v[195:196], v[176:177], v[98:99]
	v_fma_f64 v[170:171], v[189:190], v[72:73], -v[170:171]
	v_add_f64 v[189:190], v[158:159], v[0:1]
	v_fma_f64 v[186:187], v[191:192], v[72:73], v[186:187]
	v_add_f64 v[191:192], v[156:157], v[178:179]
	v_fma_f64 v[193:194], v[166:167], v[100:101], -v[193:194]
	v_mul_f64 v[166:167], v[174:175], v[98:99]
	v_fma_f64 v[197:198], v[168:169], v[100:101], v[154:155]
	v_fma_f64 v[195:196], v[174:175], v[96:97], -v[195:196]
	s_waitcnt vmcnt(1)
	v_mul_f64 v[154:155], v[184:185], v[86:87]
	v_add_f64 v[168:169], v[189:190], v[156:157]
	v_mul_f64 v[174:175], v[182:183], v[86:87]
	v_fma_f64 v[189:190], v[191:192], -0.5, v[158:159]
	v_add_f64 v[191:192], v[2:3], -v[186:187]
	v_fma_f64 v[199:200], v[176:177], v[96:97], v[166:167]
	s_waitcnt vmcnt(0) lgkmcnt(0)
	v_mul_f64 v[166:167], v[205:206], v[78:79]
	v_mul_f64 v[176:177], v[203:204], v[78:79]
	v_add_f64 v[201:202], v[0:1], v[170:171]
	v_add_f64 v[168:169], v[168:169], v[178:179]
	v_fma_f64 v[182:183], v[182:183], v[84:85], -v[154:155]
	v_fma_f64 v[184:185], v[184:185], v[84:85], v[174:175]
	v_fma_f64 v[174:175], v[191:192], s[14:15], v[189:190]
	v_add_f64 v[207:208], v[172:173], -v[180:181]
	v_fma_f64 v[203:204], v[203:204], v[76:77], -v[166:167]
	v_fma_f64 v[205:206], v[205:206], v[76:77], v[176:177]
	v_fma_f64 v[158:159], v[201:202], -0.5, v[158:159]
	v_add_f64 v[154:155], v[168:169], v[170:171]
	v_add_f64 v[166:167], v[0:1], -v[156:157]
	v_add_f64 v[168:169], v[170:171], -v[178:179]
	v_fma_f64 v[176:177], v[191:192], s[18:19], v[189:190]
	v_add_f64 v[189:190], v[160:161], v[2:3]
	v_fma_f64 v[174:175], v[207:208], s[6:7], v[174:175]
	v_add_f64 v[201:202], v[172:173], v[180:181]
	v_fma_f64 v[209:210], v[207:208], s[18:19], v[158:159]
	v_add_f64 v[211:212], v[156:157], -v[0:1]
	v_add_f64 v[213:214], v[178:179], -v[170:171]
	v_add_f64 v[166:167], v[166:167], v[168:169]
	v_fma_f64 v[168:169], v[207:208], s[16:17], v[176:177]
	v_fma_f64 v[176:177], v[207:208], s[14:15], v[158:159]
	v_add_f64 v[189:190], v[189:190], v[172:173]
	v_fma_f64 v[201:202], v[201:202], -0.5, v[160:161]
	v_add_f64 v[0:1], v[0:1], -v[170:171]
	v_fma_f64 v[170:171], v[191:192], s[6:7], v[209:210]
	v_add_f64 v[178:179], v[156:157], -v[178:179]
	v_fma_f64 v[158:159], v[166:167], s[12:13], v[174:175]
	v_fma_f64 v[166:167], v[166:167], s[12:13], v[168:169]
	;; [unrolled: 1-line block ×3, first 2 shown]
	v_add_f64 v[176:177], v[189:190], v[180:181]
	v_add_f64 v[189:190], v[2:3], v[186:187]
	;; [unrolled: 1-line block ×4, first 2 shown]
	v_fma_f64 v[191:192], v[0:1], s[18:19], v[201:202]
	v_add_f64 v[211:212], v[2:3], -v[172:173]
	v_add_f64 v[2:3], v[172:173], -v[2:3]
	;; [unrolled: 1-line block ×3, first 2 shown]
	v_add_f64 v[156:157], v[176:177], v[186:187]
	v_fma_f64 v[160:161], v[189:190], -0.5, v[160:161]
	v_add_f64 v[176:177], v[162:163], v[193:194]
	v_fma_f64 v[189:190], v[209:210], -0.5, v[162:163]
	v_add_f64 v[213:214], v[186:187], -v[180:181]
	v_fma_f64 v[201:202], v[0:1], s[14:15], v[201:202]
	v_fma_f64 v[174:175], v[207:208], s[12:13], v[168:169]
	;; [unrolled: 1-line block ×3, first 2 shown]
	v_add_f64 v[191:192], v[197:198], -v[205:206]
	v_fma_f64 v[209:210], v[178:179], s[14:15], v[160:161]
	v_fma_f64 v[160:161], v[178:179], s[18:19], v[160:161]
	v_add_f64 v[176:177], v[176:177], v[195:196]
	v_add_f64 v[2:3], v[2:3], v[172:173]
	v_fma_f64 v[170:171], v[207:208], s[12:13], v[170:171]
	v_add_f64 v[207:208], v[211:212], v[213:214]
	v_fma_f64 v[178:179], v[178:179], s[6:7], v[201:202]
	v_fma_f64 v[180:181], v[191:192], s[14:15], v[189:190]
	;; [unrolled: 1-line block ×4, first 2 shown]
	v_add_f64 v[186:187], v[199:200], -v[184:185]
	v_add_f64 v[211:212], v[193:194], -v[195:196]
	;; [unrolled: 1-line block ×3, first 2 shown]
	v_add_f64 v[201:202], v[193:194], v[203:204]
	v_add_f64 v[215:216], v[176:177], v[182:183]
	v_fma_f64 v[160:161], v[207:208], s[12:13], v[168:169]
	v_fma_f64 v[168:169], v[207:208], s[12:13], v[178:179]
	;; [unrolled: 1-line block ×3, first 2 shown]
	v_add_f64 v[0:1], v[199:200], v[184:185]
	v_add_f64 v[207:208], v[197:198], v[205:206]
	v_fma_f64 v[180:181], v[186:187], s[6:7], v[180:181]
	v_add_f64 v[211:212], v[211:212], v[213:214]
	v_fma_f64 v[201:202], v[201:202], -0.5, v[162:163]
	v_fma_f64 v[172:173], v[2:3], s[12:13], v[209:210]
	v_fma_f64 v[2:3], v[191:192], s[18:19], v[189:190]
	v_add_f64 v[189:190], v[195:196], -v[193:194]
	v_add_f64 v[209:210], v[182:183], -v[203:204]
	v_add_f64 v[213:214], v[164:165], v[197:198]
	v_fma_f64 v[0:1], v[0:1], -0.5, v[164:165]
	v_add_f64 v[193:194], v[193:194], -v[203:204]
	v_add_f64 v[182:183], v[195:196], -v[182:183]
	v_fma_f64 v[164:165], v[207:208], -0.5, v[164:165]
	v_add_f64 v[162:163], v[215:216], v[203:204]
	v_fma_f64 v[178:179], v[211:212], s[12:13], v[180:181]
	v_fma_f64 v[180:181], v[186:187], s[18:19], v[201:202]
	;; [unrolled: 1-line block ×3, first 2 shown]
	v_add_f64 v[195:196], v[189:190], v[209:210]
	v_fma_f64 v[186:187], v[186:187], s[14:15], v[201:202]
	v_add_f64 v[189:190], v[213:214], v[199:200]
	v_fma_f64 v[201:202], v[193:194], s[18:19], v[0:1]
	v_add_f64 v[203:204], v[197:198], -v[199:200]
	v_add_f64 v[207:208], v[205:206], -v[184:185]
	v_fma_f64 v[0:1], v[193:194], s[14:15], v[0:1]
	v_fma_f64 v[209:210], v[182:183], s[14:15], v[164:165]
	v_add_f64 v[197:198], v[199:200], -v[197:198]
	v_add_f64 v[199:200], v[184:185], -v[205:206]
	v_fma_f64 v[164:165], v[182:183], s[18:19], v[164:165]
	v_fma_f64 v[180:181], v[191:192], s[6:7], v[180:181]
	;; [unrolled: 1-line block ×3, first 2 shown]
	v_add_f64 v[184:185], v[189:190], v[184:185]
	v_fma_f64 v[191:192], v[182:183], s[16:17], v[201:202]
	v_add_f64 v[201:202], v[203:204], v[207:208]
	v_fma_f64 v[0:1], v[182:183], s[6:7], v[0:1]
	v_fma_f64 v[207:208], v[193:194], s[16:17], v[209:210]
	v_add_f64 v[197:198], v[197:198], v[199:200]
	v_fma_f64 v[193:194], v[193:194], s[6:7], v[164:165]
	;; [unrolled: 3-line block ×3, first 2 shown]
	v_fma_f64 v[180:181], v[201:202], s[12:13], v[191:192]
	v_fma_f64 v[184:185], v[201:202], s[12:13], v[0:1]
	v_add_co_u32_e64 v0, s[0:1], s0, v152
	v_addc_co_u32_e64 v1, s[0:1], 0, v153, s[0:1]
	v_fma_f64 v[191:192], v[197:198], s[12:13], v[207:208]
	s_movk_i32 s0, 0x6000
	v_fma_f64 v[203:204], v[195:196], s[12:13], v[186:187]
	v_fma_f64 v[205:206], v[197:198], s[12:13], v[193:194]
	ds_write_b128 v221, v[154:157]
	ds_write_b128 v221, v[158:161] offset:3520
	ds_write_b128 v221, v[170:173] offset:7040
	;; [unrolled: 1-line block ×9, first 2 shown]
	s_waitcnt lgkmcnt(0)
	s_barrier
	global_load_dwordx4 v[154:157], v[0:1], off offset:1216
	v_add_co_u32_e64 v0, s[0:1], s0, v152
	v_addc_co_u32_e64 v1, s[0:1], 0, v153, s[0:1]
	global_load_dwordx4 v[158:161], v[0:1], off offset:1824
	s_movk_i32 s0, 0x44c0
	v_add_co_u32_e64 v2, s[0:1], s0, v152
	v_addc_co_u32_e64 v3, s[0:1], 0, v153, s[0:1]
	global_load_dwordx4 v[162:165], v[2:3], off offset:1760
	global_load_dwordx4 v[166:169], v[0:1], off offset:3584
	;; [unrolled: 1-line block ×3, first 2 shown]
	s_movk_i32 s0, 0x7000
	v_add_co_u32_e64 v2, s[0:1], s0, v152
	v_addc_co_u32_e64 v3, s[0:1], 0, v153, s[0:1]
	global_load_dwordx4 v[174:177], v[2:3], off offset:1248
	s_movk_i32 s0, 0x5000
	v_add_co_u32_e64 v178, s[0:1], s0, v152
	v_addc_co_u32_e64 v179, s[0:1], 0, v153, s[0:1]
	s_mov_b32 s0, 0x8000
	global_load_dwordx4 v[178:181], v[178:179], off offset:2400
	s_nop 0
	global_load_dwordx4 v[182:185], v[2:3], off offset:3008
	global_load_dwordx4 v[189:192], v[0:1], off offset:64
	v_add_co_u32_e64 v0, s[0:1], s0, v152
	v_addc_co_u32_e64 v1, s[0:1], 0, v153, s[0:1]
	global_load_dwordx4 v[203:206], v[0:1], off offset:672
	ds_read_b128 v[207:210], v221
	ds_read_b128 v[211:214], v221 offset:8800
	ds_read_b128 v[215:218], v221 offset:1760
	ds_read_b128 v[227:230], v221 offset:7040
	s_waitcnt vmcnt(9) lgkmcnt(3)
	v_mul_f64 v[0:1], v[209:210], v[156:157]
	v_mul_f64 v[2:3], v[207:208], v[156:157]
	s_waitcnt vmcnt(8) lgkmcnt(2)
	v_mul_f64 v[156:157], v[213:214], v[160:161]
	v_mul_f64 v[160:161], v[211:212], v[160:161]
	v_fma_f64 v[152:153], v[207:208], v[154:155], -v[0:1]
	v_fma_f64 v[154:155], v[209:210], v[154:155], v[2:3]
	s_waitcnt vmcnt(7) lgkmcnt(1)
	v_mul_f64 v[0:1], v[217:218], v[164:165]
	v_mul_f64 v[2:3], v[215:216], v[164:165]
	v_fma_f64 v[156:157], v[211:212], v[158:159], -v[156:157]
	v_fma_f64 v[158:159], v[213:214], v[158:159], v[160:161]
	ds_write_b128 v221, v[152:155]
	ds_write_b128 v221, v[156:159] offset:8800
	ds_read_b128 v[152:155], v221 offset:10560
	ds_read_b128 v[156:159], v221 offset:3520
	;; [unrolled: 1-line block ×3, first 2 shown]
	v_fma_f64 v[160:161], v[215:216], v[162:163], -v[0:1]
	ds_read_b128 v[211:214], v221 offset:5280
	v_fma_f64 v[162:163], v[217:218], v[162:163], v[2:3]
	s_waitcnt vmcnt(6) lgkmcnt(3)
	v_mul_f64 v[164:165], v[154:155], v[168:169]
	v_mul_f64 v[168:169], v[152:153], v[168:169]
	s_waitcnt vmcnt(5) lgkmcnt(2)
	v_mul_f64 v[186:187], v[158:159], v[172:173]
	v_mul_f64 v[172:173], v[156:157], v[172:173]
	;; [unrolled: 3-line block ×3, first 2 shown]
	v_fma_f64 v[152:153], v[152:153], v[166:167], -v[164:165]
	v_fma_f64 v[154:155], v[154:155], v[166:167], v[168:169]
	v_fma_f64 v[156:157], v[156:157], v[170:171], -v[186:187]
	v_fma_f64 v[158:159], v[158:159], v[170:171], v[172:173]
	ds_read_b128 v[168:171], v221 offset:14080
	v_fma_f64 v[164:165], v[207:208], v[174:175], -v[193:194]
	v_fma_f64 v[166:167], v[209:210], v[174:175], v[0:1]
	ds_read_b128 v[172:175], v221 offset:15840
	s_waitcnt vmcnt(3) lgkmcnt(2)
	v_mul_f64 v[0:1], v[213:214], v[180:181]
	v_mul_f64 v[2:3], v[211:212], v[180:181]
	s_waitcnt vmcnt(2) lgkmcnt(1)
	v_mul_f64 v[180:181], v[170:171], v[184:185]
	v_mul_f64 v[184:185], v[168:169], v[184:185]
	s_waitcnt vmcnt(1)
	v_mul_f64 v[186:187], v[229:230], v[191:192]
	v_mul_f64 v[191:192], v[227:228], v[191:192]
	s_waitcnt vmcnt(0) lgkmcnt(0)
	v_mul_f64 v[193:194], v[174:175], v[205:206]
	v_mul_f64 v[195:196], v[172:173], v[205:206]
	v_fma_f64 v[176:177], v[211:212], v[178:179], -v[0:1]
	v_fma_f64 v[178:179], v[213:214], v[178:179], v[2:3]
	v_fma_f64 v[168:169], v[168:169], v[182:183], -v[180:181]
	v_fma_f64 v[170:171], v[170:171], v[182:183], v[184:185]
	;; [unrolled: 2-line block ×4, first 2 shown]
	ds_write_b128 v221, v[160:163] offset:1760
	ds_write_b128 v221, v[152:155] offset:10560
	;; [unrolled: 1-line block ×8, first 2 shown]
	s_waitcnt lgkmcnt(0)
	s_barrier
	ds_read_b128 v[152:155], v221 offset:8800
	ds_read_b128 v[156:159], v221
	ds_read_b128 v[160:163], v221 offset:1760
	ds_read_b128 v[164:167], v221 offset:7040
	;; [unrolled: 1-line block ×8, first 2 shown]
	s_waitcnt lgkmcnt(0)
	v_add_f64 v[152:153], v[156:157], -v[152:153]
	v_add_f64 v[154:155], v[158:159], -v[154:155]
	;; [unrolled: 1-line block ×10, first 2 shown]
	v_fma_f64 v[156:157], v[156:157], 2.0, -v[152:153]
	v_fma_f64 v[158:159], v[158:159], 2.0, -v[154:155]
	;; [unrolled: 1-line block ×10, first 2 shown]
	s_barrier
	ds_write_b128 v9, v[156:159]
	ds_write_b128 v9, v[152:155] offset:16
	ds_write_b128 v8, v[160:163]
	ds_write_b128 v8, v[168:171] offset:16
	;; [unrolled: 2-line block ×5, first 2 shown]
	s_waitcnt lgkmcnt(0)
	s_barrier
	ds_read_b128 v[152:155], v221 offset:8800
	ds_read_b128 v[156:159], v221
	ds_read_b128 v[168:171], v221 offset:1760
	ds_read_b128 v[160:163], v221 offset:10560
	;; [unrolled: 1-line block ×4, first 2 shown]
	s_waitcnt lgkmcnt(5)
	v_mul_f64 v[0:1], v[130:131], v[154:155]
	v_mul_f64 v[2:3], v[130:131], v[152:153]
	s_waitcnt lgkmcnt(2)
	v_mul_f64 v[193:194], v[130:131], v[162:163]
	v_mul_f64 v[195:196], v[130:131], v[160:161]
	ds_read_b128 v[172:175], v221 offset:3520
	ds_read_b128 v[184:187], v221 offset:5280
	;; [unrolled: 1-line block ×4, first 2 shown]
	s_waitcnt lgkmcnt(0)
	s_barrier
	v_fma_f64 v[0:1], v[128:129], v[152:153], v[0:1]
	v_fma_f64 v[2:3], v[128:129], v[154:155], -v[2:3]
	v_fma_f64 v[160:161], v[128:129], v[160:161], v[193:194]
	v_fma_f64 v[162:163], v[128:129], v[162:163], -v[195:196]
	v_mul_f64 v[193:194], v[130:131], v[166:167]
	v_mul_f64 v[195:196], v[130:131], v[164:165]
	v_mul_f64 v[197:198], v[130:131], v[178:179]
	v_mul_f64 v[199:200], v[130:131], v[176:177]
	v_mul_f64 v[201:202], v[130:131], v[182:183]
	v_mul_f64 v[130:131], v[130:131], v[180:181]
	v_add_f64 v[152:153], v[156:157], -v[0:1]
	v_add_f64 v[154:155], v[158:159], -v[2:3]
	v_fma_f64 v[0:1], v[128:129], v[164:165], v[193:194]
	v_fma_f64 v[2:3], v[128:129], v[166:167], -v[195:196]
	v_fma_f64 v[164:165], v[128:129], v[176:177], v[197:198]
	v_fma_f64 v[166:167], v[128:129], v[178:179], -v[199:200]
	;; [unrolled: 2-line block ×3, first 2 shown]
	v_add_f64 v[160:161], v[168:169], -v[160:161]
	v_add_f64 v[162:163], v[170:171], -v[162:163]
	;; [unrolled: 1-line block ×8, first 2 shown]
	v_fma_f64 v[128:129], v[156:157], 2.0, -v[152:153]
	v_fma_f64 v[130:131], v[158:159], 2.0, -v[154:155]
	;; [unrolled: 1-line block ×10, first 2 shown]
	ds_write_b128 v13, v[128:131]
	ds_write_b128 v13, v[152:155] offset:32
	ds_write_b128 v14, v[156:159]
	ds_write_b128 v14, v[160:163] offset:32
	;; [unrolled: 2-line block ×5, first 2 shown]
	s_waitcnt lgkmcnt(0)
	s_barrier
	s_and_saveexec_b64 s[0:1], vcc
	s_cbranch_execz .LBB0_7
; %bb.6:
	ds_read_b128 v[128:131], v221
	ds_read_b128 v[152:155], v221 offset:1600
	ds_read_b128 v[156:159], v221 offset:3200
	;; [unrolled: 1-line block ×10, first 2 shown]
.LBB0_7:
	s_or_b64 exec, exec, s[0:1]
	s_waitcnt lgkmcnt(0)
	s_barrier
	s_and_saveexec_b64 s[0:1], vcc
	s_cbranch_execz .LBB0_9
; %bb.8:
	v_mul_f64 v[0:1], v[146:147], v[182:183]
	v_mul_f64 v[2:3], v[146:147], v[180:181]
	s_mov_b32 s22, 0xfd768dbf
	s_mov_b32 s23, 0xbfd207e7
	;; [unrolled: 1-line block ×6, first 2 shown]
	v_fma_f64 v[191:192], v[144:145], v[180:181], v[0:1]
	v_mul_f64 v[0:1], v[142:143], v[186:187]
	v_fma_f64 v[180:181], v[144:145], v[182:183], -v[2:3]
	v_mul_f64 v[2:3], v[142:143], v[184:185]
	s_mov_b32 s16, 0xbb3a28a1
	s_mov_b32 s20, 0x8764f0ba
	;; [unrolled: 1-line block ×5, first 2 shown]
	v_fma_f64 v[189:190], v[140:141], v[184:185], v[0:1]
	s_mov_b32 s13, 0x3fed1bb4
	v_fma_f64 v[182:183], v[140:141], v[186:187], -v[2:3]
	v_mul_f64 v[140:141], v[134:135], v[174:175]
	v_mul_f64 v[134:135], v[134:135], v[172:173]
	s_mov_b32 s12, 0x8eee2c13
	s_mov_b32 s19, 0xbfe4f49e
	;; [unrolled: 1-line block ×3, first 2 shown]
	v_add_f64 v[193:194], v[191:192], -v[189:190]
	s_mov_b32 s14, 0xd9c712b6
	s_mov_b32 s3, 0xbfefac9e
	v_fma_f64 v[142:143], v[132:133], v[172:173], v[140:141]
	v_fma_f64 v[174:175], v[132:133], v[174:175], -v[134:135]
	v_mul_f64 v[134:135], v[118:119], v[162:163]
	v_mul_f64 v[118:119], v[118:119], v[160:161]
	;; [unrolled: 1-line block ×4, first 2 shown]
	s_mov_b32 s15, 0x3fda9628
	v_mul_f64 v[0:1], v[193:194], s[2:3]
	v_add_f64 v[184:185], v[180:181], v[182:183]
	s_mov_b32 s6, 0x640f44db
	v_fma_f64 v[172:173], v[116:117], v[160:161], v[134:135]
	v_mul_f64 v[134:135], v[126:127], v[170:171]
	v_fma_f64 v[162:163], v[116:117], v[162:163], -v[118:119]
	v_mul_f64 v[116:117], v[126:127], v[168:169]
	v_mul_f64 v[118:119], v[114:115], v[158:159]
	;; [unrolled: 1-line block ×3, first 2 shown]
	v_fma_f64 v[140:141], v[136:137], v[176:177], v[140:141]
	v_fma_f64 v[176:177], v[136:137], v[178:179], -v[132:133]
	s_mov_b32 s7, 0xbfc2375f
	v_fma_f64 v[144:145], v[124:125], v[168:169], v[134:135]
	v_fma_f64 v[2:3], v[184:185], s[6:7], v[0:1]
	v_fma_f64 v[168:169], v[124:125], v[170:171], -v[116:117]
	v_fma_f64 v[160:161], v[112:113], v[156:157], v[118:119]
	v_mul_f64 v[118:119], v[122:123], v[166:167]
	v_fma_f64 v[170:171], v[112:113], v[158:159], -v[114:115]
	v_mul_f64 v[114:115], v[106:107], v[154:155]
	v_mul_f64 v[112:113], v[122:123], v[164:165]
	;; [unrolled: 1-line block ×3, first 2 shown]
	v_add_f64 v[197:198], v[172:173], -v[144:145]
	v_add_f64 v[186:187], v[142:143], -v[140:141]
	v_add_f64 v[195:196], v[162:163], v[168:169]
	v_fma_f64 v[146:147], v[120:121], v[164:165], v[118:119]
	v_add_f64 v[178:179], v[174:175], v[176:177]
	v_fma_f64 v[164:165], v[104:105], v[152:153], v[114:115]
	v_mul_f64 v[114:115], v[110:111], v[150:151]
	v_fma_f64 v[152:153], v[104:105], v[154:155], -v[106:107]
	v_mul_f64 v[104:105], v[110:111], v[148:149]
	v_fma_f64 v[158:159], v[120:121], v[166:167], -v[112:113]
	v_mul_f64 v[134:135], v[197:198], s[16:17]
	v_add_f64 v[199:200], v[160:161], -v[146:147]
	v_mul_f64 v[223:224], v[186:187], s[12:13]
	v_add_f64 v[215:216], v[162:163], -v[168:169]
	v_fma_f64 v[156:157], v[108:109], v[148:149], v[114:115]
	v_add_f64 v[207:208], v[160:161], v[146:147]
	v_fma_f64 v[148:149], v[108:109], v[150:151], -v[104:105]
	v_add_f64 v[166:167], v[170:171], v[158:159]
	v_add_f64 v[217:218], v[170:171], -v[158:159]
	v_mul_f64 v[118:119], v[199:200], s[26:27]
	v_fma_f64 v[116:117], v[195:196], s[18:19], v[134:135]
	v_fma_f64 v[132:133], v[178:179], s[14:15], v[223:224]
	v_add_f64 v[201:202], v[164:165], -v[156:157]
	v_add_f64 v[209:210], v[164:165], v[156:157]
	v_add_f64 v[150:151], v[152:153], v[148:149]
	v_add_f64 v[219:220], v[152:153], -v[148:149]
	v_mul_f64 v[120:121], v[217:218], s[26:27]
	v_fma_f64 v[112:113], v[166:167], s[20:21], v[118:119]
	v_add_f64 v[213:214], v[174:175], -v[176:177]
	v_add_f64 v[205:206], v[172:173], v[144:145]
	v_mul_f64 v[114:115], v[201:202], s[22:23]
	v_add_f64 v[211:212], v[180:181], -v[182:183]
	v_add_f64 v[203:204], v[142:143], v[140:141]
	v_mul_f64 v[124:125], v[219:220], s[22:23]
	v_fma_f64 v[122:123], v[207:208], s[20:21], -v[120:121]
	v_add_f64 v[154:155], v[191:192], v[189:190]
	v_mul_f64 v[108:109], v[213:214], s[12:13]
	v_fma_f64 v[118:119], v[166:167], s[20:21], -v[118:119]
	v_fma_f64 v[104:105], v[150:151], s[24:25], v[114:115]
	v_fma_f64 v[114:115], v[150:151], s[24:25], -v[114:115]
	v_fma_f64 v[0:1], v[184:185], s[6:7], -v[0:1]
	;; [unrolled: 1-line block ×3, first 2 shown]
	s_mov_b32 s31, 0x3fefac9e
	s_mov_b32 s30, s2
	v_fma_f64 v[110:111], v[203:204], s[14:15], -v[108:109]
	s_mov_b32 s29, 0xbfe14ced
	v_add_f64 v[104:105], v[130:131], v[104:105]
	v_add_f64 v[114:115], v[130:131], v[114:115]
	s_mov_b32 s28, s26
	v_add_f64 v[126:127], v[128:129], v[126:127]
	v_mul_f64 v[136:137], v[217:218], s[30:31]
	s_mov_b32 s35, 0x3fd207e7
	s_mov_b32 s34, s22
	v_mul_f64 v[237:238], v[219:220], s[2:3]
	v_add_f64 v[104:105], v[112:113], v[104:105]
	v_mul_f64 v[112:113], v[215:216], s[16:17]
	v_add_f64 v[114:115], v[118:119], v[114:115]
	v_add_f64 v[122:123], v[122:123], v[126:127]
	v_mul_f64 v[118:119], v[197:198], s[28:29]
	v_fma_f64 v[138:139], v[207:208], s[6:7], -v[136:137]
	v_mul_f64 v[229:230], v[217:218], s[34:35]
	v_fma_f64 v[239:240], v[209:210], s[6:7], -v[237:238]
	v_add_f64 v[104:105], v[116:117], v[104:105]
	v_fma_f64 v[116:117], v[205:206], s[18:19], -v[112:113]
	v_mul_f64 v[241:242], v[217:218], s[16:17]
	v_fma_f64 v[231:232], v[207:208], s[24:25], -v[229:230]
	v_add_f64 v[239:240], v[128:129], v[239:240]
	v_add_f64 v[104:105], v[132:133], v[104:105]
	;; [unrolled: 1-line block ×3, first 2 shown]
	v_mul_f64 v[132:133], v[215:216], s[28:29]
	v_fma_f64 v[243:244], v[207:208], s[18:19], -v[241:242]
	v_add_f64 v[231:232], v[231:232], v[239:240]
	v_add_f64 v[106:107], v[2:3], v[104:105]
	v_mul_f64 v[2:3], v[211:212], s[2:3]
	v_add_f64 v[110:111], v[110:111], v[116:117]
	v_fma_f64 v[116:117], v[195:196], s[18:19], -v[134:135]
	v_fma_f64 v[134:135], v[205:206], s[20:21], -v[132:133]
	;; [unrolled: 1-line block ×3, first 2 shown]
	v_add_f64 v[114:115], v[116:117], v[114:115]
	v_mul_f64 v[116:117], v[186:187], s[22:23]
	v_add_f64 v[104:105], v[104:105], v[110:111]
	v_fma_f64 v[110:111], v[178:179], s[14:15], -v[223:224]
	v_mul_f64 v[223:224], v[219:220], s[16:17]
	v_add_f64 v[110:111], v[110:111], v[114:115]
	v_fma_f64 v[114:115], v[209:210], s[24:25], v[124:125]
	v_mul_f64 v[124:125], v[201:202], s[16:17]
	v_fma_f64 v[227:228], v[209:210], s[18:19], -v[223:224]
	v_add_f64 v[110:111], v[0:1], v[110:111]
	v_fma_f64 v[0:1], v[154:155], s[6:7], v[2:3]
	v_fma_f64 v[2:3], v[203:204], s[14:15], v[108:109]
	;; [unrolled: 1-line block ×4, first 2 shown]
	v_add_f64 v[114:115], v[128:129], v[114:115]
	v_mul_f64 v[120:121], v[199:200], s[30:31]
	v_fma_f64 v[126:127], v[150:151], s[18:19], v[124:125]
	v_fma_f64 v[124:125], v[150:151], s[18:19], -v[124:125]
	v_add_f64 v[227:228], v[128:129], v[227:228]
	v_add_f64 v[112:113], v[112:113], v[114:115]
	v_fma_f64 v[122:123], v[166:167], s[6:7], v[120:121]
	v_add_f64 v[126:127], v[130:131], v[126:127]
	v_fma_f64 v[114:115], v[195:196], s[20:21], v[118:119]
	v_fma_f64 v[120:121], v[166:167], s[6:7], -v[120:121]
	v_add_f64 v[124:125], v[130:131], v[124:125]
	v_fma_f64 v[118:119], v[195:196], s[20:21], -v[118:119]
	v_add_f64 v[138:139], v[138:139], v[227:228]
	v_add_f64 v[108:109], v[108:109], v[112:113]
	v_fma_f64 v[112:113], v[178:179], s[24:25], v[116:117]
	v_add_f64 v[122:123], v[122:123], v[126:127]
	v_fma_f64 v[116:117], v[178:179], s[24:25], -v[116:117]
	v_add_f64 v[120:121], v[120:121], v[124:125]
	v_mul_f64 v[124:125], v[186:187], s[28:29]
	v_add_f64 v[134:135], v[134:135], v[138:139]
	v_add_f64 v[2:3], v[2:3], v[108:109]
	;; [unrolled: 1-line block ×3, first 2 shown]
	v_mul_f64 v[122:123], v[213:214], s[22:23]
	v_add_f64 v[118:119], v[118:119], v[120:121]
	v_fma_f64 v[120:121], v[207:208], s[6:7], v[136:137]
	v_mul_f64 v[136:137], v[201:202], s[2:3]
	v_add_f64 v[108:109], v[0:1], v[2:3]
	v_mul_f64 v[0:1], v[193:194], s[12:13]
	v_add_f64 v[112:113], v[112:113], v[114:115]
	v_fma_f64 v[126:127], v[203:204], s[24:25], -v[122:123]
	v_add_f64 v[116:117], v[116:117], v[118:119]
	v_fma_f64 v[138:139], v[150:151], s[6:7], v[136:137]
	v_fma_f64 v[136:137], v[150:151], s[6:7], -v[136:137]
	v_fma_f64 v[2:3], v[184:185], s[14:15], v[0:1]
	v_fma_f64 v[0:1], v[184:185], s[14:15], -v[0:1]
	v_add_f64 v[126:127], v[126:127], v[134:135]
	v_add_f64 v[138:139], v[130:131], v[138:139]
	;; [unrolled: 1-line block ×4, first 2 shown]
	v_mul_f64 v[2:3], v[211:212], s[12:13]
	v_add_f64 v[118:119], v[0:1], v[116:117]
	v_fma_f64 v[116:117], v[205:206], s[20:21], v[132:133]
	v_mul_f64 v[132:133], v[199:200], s[34:35]
	v_fma_f64 v[112:113], v[154:155], s[14:15], -v[2:3]
	v_fma_f64 v[0:1], v[154:155], s[14:15], v[2:3]
	v_fma_f64 v[2:3], v[203:204], s[24:25], v[122:123]
	;; [unrolled: 1-line block ×4, first 2 shown]
	v_fma_f64 v[132:133], v[166:167], s[24:25], -v[132:133]
	v_mul_f64 v[223:224], v[215:216], s[12:13]
	v_add_f64 v[112:113], v[112:113], v[126:127]
	v_mul_f64 v[126:127], v[197:198], s[12:13]
	s_mov_b32 s13, 0xbfed1bb4
	v_add_f64 v[122:123], v[128:129], v[122:123]
	v_add_f64 v[134:135], v[134:135], v[138:139]
	;; [unrolled: 1-line block ×3, first 2 shown]
	v_fma_f64 v[227:228], v[205:206], s[14:15], -v[223:224]
	v_mul_f64 v[136:137], v[186:187], s[30:31]
	v_mul_f64 v[245:246], v[219:220], s[12:13]
	;; [unrolled: 1-line block ×4, first 2 shown]
	v_add_f64 v[120:121], v[120:121], v[122:123]
	v_fma_f64 v[122:123], v[195:196], s[14:15], v[126:127]
	v_fma_f64 v[126:127], v[195:196], s[14:15], -v[126:127]
	v_add_f64 v[227:228], v[227:228], v[231:232]
	v_mul_f64 v[217:218], v[217:218], s[12:13]
	v_fma_f64 v[247:248], v[209:210], s[14:15], -v[245:246]
	v_add_f64 v[116:117], v[116:117], v[120:121]
	v_fma_f64 v[120:121], v[178:179], s[20:21], v[124:125]
	v_add_f64 v[122:123], v[122:123], v[134:135]
	v_fma_f64 v[124:125], v[178:179], s[20:21], -v[124:125]
	v_add_f64 v[126:127], v[126:127], v[132:133]
	v_mul_f64 v[134:135], v[213:214], s[28:29]
	v_fma_f64 v[132:133], v[207:208], s[24:25], v[229:230]
	v_mul_f64 v[229:230], v[201:202], s[12:13]
	v_add_f64 v[2:3], v[2:3], v[116:117]
	v_mul_f64 v[201:202], v[201:202], s[28:29]
	v_add_f64 v[120:121], v[120:121], v[122:123]
	v_add_f64 v[247:248], v[128:129], v[247:248]
	;; [unrolled: 1-line block ×3, first 2 shown]
	v_fma_f64 v[138:139], v[203:204], s[20:21], -v[134:135]
	v_fma_f64 v[231:232], v[150:151], s[14:15], v[229:230]
	v_add_f64 v[116:117], v[0:1], v[2:3]
	v_mul_f64 v[0:1], v[193:194], s[16:17]
	v_fma_f64 v[229:230], v[150:151], s[14:15], -v[229:230]
	v_add_f64 v[243:244], v[243:244], v[247:248]
	v_add_f64 v[138:139], v[138:139], v[227:228]
	;; [unrolled: 1-line block ×3, first 2 shown]
	v_fma_f64 v[2:3], v[184:185], s[18:19], v[0:1]
	v_fma_f64 v[0:1], v[184:185], s[18:19], -v[0:1]
	v_add_f64 v[229:230], v[130:131], v[229:230]
	v_add_f64 v[122:123], v[2:3], v[120:121]
	v_mul_f64 v[2:3], v[211:212], s[16:17]
	v_add_f64 v[126:127], v[0:1], v[124:125]
	v_fma_f64 v[124:125], v[205:206], s[14:15], v[223:224]
	v_mul_f64 v[223:224], v[199:200], s[16:17]
	v_fma_f64 v[120:121], v[154:155], s[18:19], -v[2:3]
	v_fma_f64 v[0:1], v[154:155], s[18:19], v[2:3]
	v_fma_f64 v[2:3], v[203:204], s[20:21], v[134:135]
	v_fma_f64 v[134:135], v[209:210], s[6:7], v[237:238]
	v_fma_f64 v[227:228], v[166:167], s[18:19], v[223:224]
	v_fma_f64 v[223:224], v[166:167], s[18:19], -v[223:224]
	v_mul_f64 v[237:238], v[215:216], s[34:35]
	v_add_f64 v[120:121], v[120:121], v[138:139]
	v_mul_f64 v[138:139], v[197:198], s[34:35]
	v_add_f64 v[134:135], v[128:129], v[134:135]
	v_add_f64 v[227:228], v[227:228], v[231:232]
	;; [unrolled: 1-line block ×3, first 2 shown]
	v_fma_f64 v[229:230], v[150:151], s[20:21], v[201:202]
	v_fma_f64 v[150:151], v[150:151], s[20:21], -v[201:202]
	v_fma_f64 v[239:240], v[205:206], s[24:25], -v[237:238]
	v_add_f64 v[132:133], v[132:133], v[134:135]
	v_fma_f64 v[134:135], v[195:196], s[24:25], v[138:139]
	v_fma_f64 v[138:139], v[195:196], s[24:25], -v[138:139]
	v_add_f64 v[229:230], v[130:131], v[229:230]
	v_add_f64 v[150:151], v[130:131], v[150:151]
	;; [unrolled: 1-line block ×4, first 2 shown]
	v_fma_f64 v[132:133], v[178:179], s[6:7], v[136:137]
	v_add_f64 v[134:135], v[134:135], v[227:228]
	v_fma_f64 v[136:137], v[178:179], s[6:7], -v[136:137]
	v_add_f64 v[138:139], v[138:139], v[223:224]
	v_mul_f64 v[227:228], v[213:214], s[30:31]
	v_fma_f64 v[223:224], v[207:208], s[18:19], v[241:242]
	v_add_f64 v[2:3], v[2:3], v[124:125]
	v_add_f64 v[132:133], v[132:133], v[134:135]
	;; [unrolled: 1-line block ×3, first 2 shown]
	v_fma_f64 v[231:232], v[203:204], s[6:7], -v[227:228]
	v_add_f64 v[124:125], v[0:1], v[2:3]
	v_mul_f64 v[0:1], v[193:194], s[26:27]
	v_add_f64 v[231:232], v[231:232], v[239:240]
	v_fma_f64 v[2:3], v[184:185], s[20:21], v[0:1]
	v_fma_f64 v[0:1], v[184:185], s[20:21], -v[0:1]
	v_add_f64 v[134:135], v[2:3], v[132:133]
	v_mul_f64 v[2:3], v[211:212], s[26:27]
	v_add_f64 v[138:139], v[0:1], v[136:137]
	v_fma_f64 v[136:137], v[205:206], s[24:25], v[237:238]
	v_fma_f64 v[132:133], v[154:155], s[20:21], -v[2:3]
	v_fma_f64 v[0:1], v[154:155], s[20:21], v[2:3]
	v_fma_f64 v[2:3], v[203:204], s[6:7], v[227:228]
	;; [unrolled: 1-line block ×3, first 2 shown]
	v_add_f64 v[132:133], v[132:133], v[231:232]
	v_fma_f64 v[231:232], v[209:210], s[20:21], -v[219:220]
	v_add_f64 v[227:228], v[128:129], v[227:228]
	v_add_f64 v[231:232], v[128:129], v[231:232]
	;; [unrolled: 1-line block ×3, first 2 shown]
	v_mul_f64 v[227:228], v[199:200], s[12:13]
	v_add_f64 v[136:137], v[136:137], v[223:224]
	v_mul_f64 v[223:224], v[197:198], s[2:3]
	v_fma_f64 v[199:200], v[166:167], s[14:15], v[227:228]
	v_fma_f64 v[166:167], v[166:167], s[14:15], -v[227:228]
	v_add_f64 v[2:3], v[2:3], v[136:137]
	v_fma_f64 v[197:198], v[195:196], s[6:7], v[223:224]
	v_add_f64 v[199:200], v[199:200], v[229:230]
	v_add_f64 v[150:151], v[166:167], v[150:151]
	v_fma_f64 v[166:167], v[209:210], s[20:21], v[219:220]
	v_fma_f64 v[229:230], v[207:208], s[14:15], -v[217:218]
	v_add_f64 v[136:137], v[0:1], v[2:3]
	v_mul_f64 v[0:1], v[193:194], s[22:23]
	v_fma_f64 v[193:194], v[178:179], s[18:19], v[186:187]
	v_add_f64 v[197:198], v[197:198], v[199:200]
	v_fma_f64 v[178:179], v[178:179], s[18:19], -v[186:187]
	v_add_f64 v[166:167], v[128:129], v[166:167]
	v_add_f64 v[229:230], v[229:230], v[231:232]
	v_fma_f64 v[2:3], v[184:185], s[24:25], v[0:1]
	v_fma_f64 v[0:1], v[184:185], s[24:25], -v[0:1]
	v_fma_f64 v[184:185], v[195:196], s[6:7], -v[223:224]
	v_add_f64 v[193:194], v[193:194], v[197:198]
	v_add_f64 v[150:151], v[184:185], v[150:151]
	;; [unrolled: 1-line block ×3, first 2 shown]
	v_mul_f64 v[2:3], v[211:212], s[22:23]
	v_mul_f64 v[211:212], v[213:214], s[16:17]
	;; [unrolled: 1-line block ×3, first 2 shown]
	v_add_f64 v[150:151], v[178:179], v[150:151]
	v_fma_f64 v[193:194], v[154:155], s[24:25], -v[2:3]
	v_fma_f64 v[197:198], v[203:204], s[18:19], -v[211:212]
	v_fma_f64 v[215:216], v[205:206], s[6:7], -v[213:214]
	v_add_f64 v[186:187], v[0:1], v[150:151]
	v_fma_f64 v[0:1], v[154:155], s[24:25], v[2:3]
	v_fma_f64 v[154:155], v[207:208], s[14:15], v[217:218]
	;; [unrolled: 1-line block ×4, first 2 shown]
	v_add_f64 v[215:216], v[215:216], v[229:230]
	v_add_f64 v[154:155], v[154:155], v[166:167]
	;; [unrolled: 1-line block ×27, first 2 shown]
	v_mul_u32_u24_e32 v0, 44, v222
	v_or_b32_e32 v0, v0, v249
	v_lshlrev_b32_e32 v0, 4, v0
	ds_write_b128 v0, v[128:131]
	ds_write_b128 v0, v[184:187] offset:64
	ds_write_b128 v0, v[136:139] offset:128
	;; [unrolled: 1-line block ×10, first 2 shown]
.LBB0_9:
	s_or_b64 exec, exec, s[0:1]
	s_waitcnt lgkmcnt(0)
	s_barrier
	ds_read_b128 v[106:109], v221
	ds_read_b128 v[110:113], v221 offset:1760
	ds_read_b128 v[114:117], v221 offset:3520
	;; [unrolled: 1-line block ×7, first 2 shown]
	s_waitcnt lgkmcnt(5)
	v_mul_f64 v[0:1], v[58:59], v[116:117]
	v_mul_f64 v[2:3], v[58:59], v[114:115]
	s_waitcnt lgkmcnt(3)
	v_mul_f64 v[58:59], v[50:51], v[124:125]
	s_waitcnt lgkmcnt(1)
	v_mul_f64 v[146:147], v[54:55], v[132:133]
	ds_read_b128 v[138:141], v221 offset:14080
	ds_read_b128 v[142:145], v221 offset:15840
	v_mul_f64 v[50:51], v[50:51], v[122:123]
	v_mul_f64 v[54:55], v[54:55], v[130:131]
	v_mad_u64_u32 v[104:105], s[0:1], s10, v251, 0
	v_fma_f64 v[0:1], v[56:57], v[114:115], v[0:1]
	s_waitcnt lgkmcnt(1)
	v_mul_f64 v[114:115], v[46:47], v[140:141]
	v_mul_f64 v[46:47], v[46:47], v[138:139]
	v_fma_f64 v[2:3], v[56:57], v[116:117], -v[2:3]
	v_fma_f64 v[56:57], v[48:49], v[122:123], v[58:59]
	v_fma_f64 v[58:59], v[52:53], v[130:131], v[146:147]
	v_fma_f64 v[50:51], v[48:49], v[124:125], -v[50:51]
	v_fma_f64 v[54:55], v[52:53], v[132:133], -v[54:55]
	v_mul_f64 v[48:49], v[70:71], v[120:121]
	v_fma_f64 v[52:53], v[44:45], v[138:139], v[114:115]
	v_fma_f64 v[46:47], v[44:45], v[140:141], -v[46:47]
	v_mul_f64 v[44:45], v[70:71], v[118:119]
	v_mul_f64 v[70:71], v[66:67], v[128:129]
	v_add_f64 v[114:115], v[106:107], v[0:1]
	v_mul_f64 v[66:67], v[66:67], v[126:127]
	v_add_f64 v[116:117], v[56:57], v[58:59]
	v_fma_f64 v[118:119], v[68:69], v[118:119], v[48:49]
	v_mul_f64 v[48:49], v[62:63], v[136:137]
	v_mul_f64 v[62:63], v[62:63], v[134:135]
	v_fma_f64 v[68:69], v[68:69], v[120:121], -v[44:45]
	v_fma_f64 v[70:71], v[64:65], v[126:127], v[70:71]
	v_add_f64 v[44:45], v[114:115], v[56:57]
	v_fma_f64 v[66:67], v[64:65], v[128:129], -v[66:67]
	v_fma_f64 v[64:65], v[116:117], -0.5, v[106:107]
	v_add_f64 v[114:115], v[2:3], -v[46:47]
	s_mov_b32 s0, 0x134454ff
	s_mov_b32 s1, 0xbfee6f0e
	v_fma_f64 v[116:117], v[60:61], v[134:135], v[48:49]
	v_fma_f64 v[62:63], v[60:61], v[136:137], -v[62:63]
	s_waitcnt lgkmcnt(0)
	v_mul_f64 v[48:49], v[42:43], v[144:145]
	v_mul_f64 v[42:43], v[42:43], v[142:143]
	v_add_f64 v[120:121], v[50:51], -v[54:55]
	v_fma_f64 v[60:61], v[114:115], s[0:1], v[64:65]
	s_mov_b32 s6, 0x4755a5e
	s_mov_b32 s7, 0xbfe2cf23
	;; [unrolled: 1-line block ×4, first 2 shown]
	v_add_f64 v[44:45], v[44:45], v[58:59]
	v_add_f64 v[122:123], v[0:1], -v[56:57]
	v_add_f64 v[124:125], v[52:53], -v[58:59]
	v_add_f64 v[126:127], v[0:1], v[52:53]
	v_fma_f64 v[130:131], v[40:41], v[144:145], -v[42:43]
	v_fma_f64 v[42:43], v[120:121], s[6:7], v[60:61]
	v_fma_f64 v[60:61], v[114:115], s[14:15], v[64:65]
	v_add_f64 v[64:65], v[108:109], v[2:3]
	s_mov_b32 s13, 0x3fe2cf23
	s_mov_b32 s12, s6
	v_fma_f64 v[128:129], v[40:41], v[142:143], v[48:49]
	v_add_f64 v[40:41], v[44:45], v[52:53]
	v_add_f64 v[48:49], v[122:123], v[124:125]
	v_fma_f64 v[44:45], v[126:127], -0.5, v[106:107]
	v_fma_f64 v[60:61], v[120:121], s[12:13], v[60:61]
	v_add_f64 v[64:65], v[64:65], v[50:51]
	s_mov_b32 s2, 0x372fe950
	s_mov_b32 s3, 0x3fd3c6ef
	v_add_f64 v[106:107], v[50:51], v[54:55]
	v_add_f64 v[124:125], v[56:57], -v[0:1]
	v_add_f64 v[126:127], v[58:59], -v[52:53]
	v_fma_f64 v[122:123], v[120:121], s[14:15], v[44:45]
	v_fma_f64 v[120:121], v[120:121], s[0:1], v[44:45]
	;; [unrolled: 1-line block ×4, first 2 shown]
	v_add_f64 v[60:61], v[64:65], v[54:55]
	v_add_f64 v[64:65], v[2:3], v[46:47]
	v_fma_f64 v[106:107], v[106:107], -0.5, v[108:109]
	v_add_f64 v[0:1], v[0:1], -v[52:53]
	v_fma_f64 v[52:53], v[114:115], s[6:7], v[122:123]
	v_add_f64 v[122:123], v[124:125], v[126:127]
	v_fma_f64 v[42:43], v[114:115], s[12:13], v[120:121]
	v_add_f64 v[58:59], v[56:57], -v[58:59]
	v_add_f64 v[124:125], v[2:3], -v[50:51]
	;; [unrolled: 1-line block ×3, first 2 shown]
	v_fma_f64 v[64:65], v[64:65], -0.5, v[108:109]
	v_fma_f64 v[114:115], v[0:1], s[14:15], v[106:107]
	v_fma_f64 v[106:107], v[0:1], s[0:1], v[106:107]
	;; [unrolled: 1-line block ×4, first 2 shown]
	v_add_f64 v[42:43], v[60:61], v[46:47]
	v_add_f64 v[2:3], v[50:51], -v[2:3]
	v_add_f64 v[122:123], v[124:125], v[126:127]
	v_fma_f64 v[124:125], v[58:59], s[0:1], v[64:65]
	v_add_f64 v[46:47], v[54:55], -v[46:47]
	v_fma_f64 v[50:51], v[58:59], s[14:15], v[64:65]
	v_add_f64 v[120:121], v[70:71], v[116:117]
	v_add_f64 v[108:109], v[110:111], v[118:119]
	v_fma_f64 v[60:61], v[58:59], s[12:13], v[114:115]
	v_fma_f64 v[58:59], v[58:59], s[6:7], v[106:107]
	v_add_f64 v[126:127], v[118:119], -v[70:71]
	v_fma_f64 v[124:125], v[0:1], s[12:13], v[124:125]
	v_add_f64 v[2:3], v[2:3], v[46:47]
	v_fma_f64 v[0:1], v[0:1], s[6:7], v[50:51]
	v_fma_f64 v[114:115], v[120:121], -0.5, v[110:111]
	v_add_f64 v[120:121], v[68:69], -v[130:131]
	v_add_f64 v[54:55], v[108:109], v[70:71]
	v_add_f64 v[132:133], v[128:129], -v[116:117]
	v_add_f64 v[106:107], v[118:119], v[128:129]
	v_fma_f64 v[50:51], v[122:123], s[2:3], v[58:59]
	v_fma_f64 v[46:47], v[122:123], s[2:3], v[60:61]
	;; [unrolled: 1-line block ×3, first 2 shown]
	v_add_f64 v[0:1], v[66:67], v[62:63]
	v_add_f64 v[122:123], v[68:69], v[130:131]
	v_fma_f64 v[64:65], v[120:121], s[0:1], v[114:115]
	v_add_f64 v[108:109], v[66:67], -v[62:63]
	v_add_f64 v[134:135], v[54:55], v[116:117]
	v_add_f64 v[126:127], v[126:127], v[132:133]
	v_fma_f64 v[106:107], v[106:107], -0.5, v[110:111]
	v_fma_f64 v[54:55], v[2:3], s[2:3], v[124:125]
	v_fma_f64 v[2:3], v[120:121], s[14:15], v[114:115]
	v_add_f64 v[132:133], v[112:113], v[68:69]
	v_add_f64 v[114:115], v[70:71], -v[118:119]
	v_add_f64 v[124:125], v[116:117], -v[128:129]
	v_fma_f64 v[0:1], v[0:1], -0.5, v[112:113]
	v_add_f64 v[118:119], v[118:119], -v[128:129]
	v_add_f64 v[70:71], v[70:71], -v[116:117]
	v_fma_f64 v[112:113], v[122:123], -0.5, v[112:113]
	v_fma_f64 v[64:65], v[108:109], s[6:7], v[64:65]
	v_fma_f64 v[110:111], v[108:109], s[14:15], v[106:107]
	;; [unrolled: 1-line block ×4, first 2 shown]
	v_add_f64 v[108:109], v[132:133], v[66:67]
	v_add_f64 v[114:115], v[114:115], v[124:125]
	v_fma_f64 v[116:117], v[118:119], s[14:15], v[0:1]
	v_add_f64 v[122:123], v[68:69], -v[66:67]
	v_add_f64 v[124:125], v[130:131], -v[62:63]
	v_add_f64 v[60:61], v[134:135], v[128:129]
	v_fma_f64 v[128:129], v[70:71], s[0:1], v[112:113]
	v_add_f64 v[66:67], v[66:67], -v[68:69]
	v_add_f64 v[68:69], v[62:63], -v[130:131]
	v_fma_f64 v[0:1], v[118:119], s[0:1], v[0:1]
	v_fma_f64 v[112:113], v[70:71], s[14:15], v[112:113]
	v_add_f64 v[62:63], v[108:109], v[62:63]
	v_fma_f64 v[108:109], v[70:71], s[12:13], v[116:117]
	v_add_f64 v[116:117], v[122:123], v[124:125]
	v_fma_f64 v[110:111], v[120:121], s[6:7], v[110:111]
	v_fma_f64 v[122:123], v[118:119], s[12:13], v[128:129]
	v_add_f64 v[124:125], v[66:67], v[68:69]
	v_fma_f64 v[120:121], v[120:121], s[12:13], v[106:107]
	v_fma_f64 v[0:1], v[70:71], s[6:7], v[0:1]
	;; [unrolled: 1-line block ×3, first 2 shown]
	v_add_f64 v[62:63], v[62:63], v[130:131]
	v_fma_f64 v[64:65], v[126:127], s[2:3], v[64:65]
	v_fma_f64 v[66:67], v[116:117], s[2:3], v[108:109]
	;; [unrolled: 1-line block ×8, first 2 shown]
	s_barrier
	ds_write_b128 v225, v[40:43]
	ds_write_b128 v225, v[44:47] offset:704
	ds_write_b128 v225, v[52:55] offset:1408
	;; [unrolled: 1-line block ×4, first 2 shown]
	ds_write_b128 v226, v[60:63]
	ds_write_b128 v226, v[64:67] offset:704
	ds_write_b128 v226, v[106:109] offset:1408
	;; [unrolled: 1-line block ×4, first 2 shown]
	s_waitcnt lgkmcnt(0)
	s_barrier
	ds_read_b128 v[40:43], v221 offset:3520
	ds_read_b128 v[44:47], v221
	ds_read_b128 v[48:51], v221 offset:1760
	ds_read_b128 v[52:55], v221 offset:5280
	;; [unrolled: 1-line block ×4, first 2 shown]
	s_waitcnt lgkmcnt(5)
	v_mul_f64 v[0:1], v[94:95], v[42:43]
	ds_read_b128 v[64:67], v221 offset:10560
	ds_read_b128 v[68:71], v221 offset:12320
	v_mul_f64 v[2:3], v[94:95], v[40:41]
	s_waitcnt lgkmcnt(3)
	v_mul_f64 v[94:95], v[90:91], v[58:59]
	v_mul_f64 v[90:91], v[90:91], v[56:57]
	s_waitcnt lgkmcnt(1)
	v_mul_f64 v[114:115], v[82:83], v[66:67]
	ds_read_b128 v[106:109], v221 offset:14080
	ds_read_b128 v[110:113], v221 offset:15840
	v_fma_f64 v[0:1], v[92:93], v[40:41], v[0:1]
	v_mul_f64 v[40:41], v[82:83], v[64:65]
	v_fma_f64 v[2:3], v[92:93], v[42:43], -v[2:3]
	v_fma_f64 v[42:43], v[88:89], v[56:57], v[94:95]
	s_waitcnt lgkmcnt(1)
	v_mul_f64 v[56:57], v[74:75], v[108:109]
	v_fma_f64 v[58:59], v[88:89], v[58:59], -v[90:91]
	v_mul_f64 v[74:75], v[74:75], v[106:107]
	v_fma_f64 v[64:65], v[80:81], v[64:65], v[114:115]
	v_mul_f64 v[82:83], v[102:103], v[54:55]
	v_fma_f64 v[66:67], v[80:81], v[66:67], -v[40:41]
	v_mul_f64 v[40:41], v[102:103], v[52:53]
	v_add_f64 v[88:89], v[44:45], v[0:1]
	v_mul_f64 v[80:81], v[98:99], v[62:63]
	v_fma_f64 v[56:57], v[72:73], v[106:107], v[56:57]
	v_fma_f64 v[72:73], v[72:73], v[108:109], -v[74:75]
	v_add_f64 v[74:75], v[42:43], v[64:65]
	v_fma_f64 v[82:83], v[100:101], v[52:53], v[82:83]
	v_mul_f64 v[52:53], v[98:99], v[60:61]
	v_fma_f64 v[90:91], v[100:101], v[54:55], -v[40:41]
	v_add_f64 v[54:55], v[88:89], v[42:43]
	v_fma_f64 v[80:81], v[96:97], v[60:61], v[80:81]
	v_mul_f64 v[40:41], v[86:87], v[70:71]
	v_mul_f64 v[60:61], v[86:87], v[68:69]
	v_fma_f64 v[74:75], v[74:75], -0.5, v[44:45]
	v_add_f64 v[86:87], v[2:3], -v[72:73]
	v_fma_f64 v[88:89], v[96:97], v[62:63], -v[52:53]
	s_waitcnt lgkmcnt(0)
	v_mul_f64 v[52:53], v[78:79], v[112:113]
	v_mul_f64 v[62:63], v[78:79], v[110:111]
	v_add_f64 v[78:79], v[0:1], v[56:57]
	v_add_f64 v[54:55], v[54:55], v[64:65]
	v_fma_f64 v[68:69], v[84:85], v[68:69], v[40:41]
	v_fma_f64 v[70:71], v[84:85], v[70:71], -v[60:61]
	v_fma_f64 v[60:61], v[86:87], s[0:1], v[74:75]
	v_add_f64 v[84:85], v[58:59], -v[66:67]
	v_fma_f64 v[92:93], v[76:77], v[110:111], v[52:53]
	v_fma_f64 v[94:95], v[76:77], v[112:113], -v[62:63]
	v_fma_f64 v[44:45], v[78:79], -0.5, v[44:45]
	v_add_f64 v[40:41], v[54:55], v[56:57]
	v_add_f64 v[52:53], v[0:1], -v[42:43]
	v_add_f64 v[54:55], v[56:57], -v[64:65]
	v_fma_f64 v[62:63], v[86:87], s[14:15], v[74:75]
	v_add_f64 v[74:75], v[46:47], v[2:3]
	v_fma_f64 v[60:61], v[84:85], s[6:7], v[60:61]
	v_add_f64 v[76:77], v[58:59], v[66:67]
	v_fma_f64 v[78:79], v[84:85], s[14:15], v[44:45]
	v_add_f64 v[96:97], v[42:43], -v[0:1]
	v_add_f64 v[98:99], v[64:65], -v[56:57]
	v_add_f64 v[52:53], v[52:53], v[54:55]
	v_fma_f64 v[54:55], v[84:85], s[12:13], v[62:63]
	v_fma_f64 v[62:63], v[84:85], s[0:1], v[44:45]
	v_add_f64 v[74:75], v[74:75], v[58:59]
	v_fma_f64 v[76:77], v[76:77], -0.5, v[46:47]
	v_add_f64 v[0:1], v[0:1], -v[56:57]
	v_fma_f64 v[56:57], v[86:87], s[6:7], v[78:79]
	v_add_f64 v[64:65], v[42:43], -v[64:65]
	v_fma_f64 v[44:45], v[52:53], s[2:3], v[60:61]
	v_fma_f64 v[52:53], v[52:53], s[2:3], v[54:55]
	;; [unrolled: 1-line block ×3, first 2 shown]
	v_add_f64 v[62:63], v[74:75], v[66:67]
	v_add_f64 v[74:75], v[2:3], v[72:73]
	;; [unrolled: 1-line block ×4, first 2 shown]
	v_add_f64 v[96:97], v[2:3], -v[58:59]
	v_add_f64 v[2:3], v[58:59], -v[2:3]
	;; [unrolled: 1-line block ×3, first 2 shown]
	v_fma_f64 v[84:85], v[0:1], s[14:15], v[76:77]
	v_add_f64 v[42:43], v[62:63], v[72:73]
	v_fma_f64 v[46:47], v[74:75], -0.5, v[46:47]
	v_add_f64 v[62:63], v[48:49], v[82:83]
	v_fma_f64 v[74:75], v[86:87], -0.5, v[48:49]
	v_add_f64 v[98:99], v[72:73], -v[66:67]
	v_fma_f64 v[76:77], v[0:1], s[0:1], v[76:77]
	v_fma_f64 v[56:57], v[78:79], s[2:3], v[56:57]
	;; [unrolled: 1-line block ×3, first 2 shown]
	v_add_f64 v[78:79], v[90:91], -v[94:95]
	v_fma_f64 v[86:87], v[64:65], s[0:1], v[46:47]
	v_fma_f64 v[46:47], v[64:65], s[14:15], v[46:47]
	v_add_f64 v[62:63], v[62:63], v[80:81]
	v_add_f64 v[2:3], v[2:3], v[58:59]
	v_fma_f64 v[54:55], v[64:65], s[12:13], v[84:85]
	v_add_f64 v[84:85], v[96:97], v[98:99]
	v_fma_f64 v[64:65], v[64:65], s[6:7], v[76:77]
	v_fma_f64 v[66:67], v[78:79], s[0:1], v[74:75]
	;; [unrolled: 1-line block ×4, first 2 shown]
	v_add_f64 v[72:73], v[88:89], -v[70:71]
	v_add_f64 v[96:97], v[82:83], -v[80:81]
	;; [unrolled: 1-line block ×3, first 2 shown]
	v_add_f64 v[76:77], v[82:83], v[92:93]
	v_add_f64 v[100:101], v[62:63], v[68:69]
	v_fma_f64 v[46:47], v[84:85], s[2:3], v[54:55]
	v_fma_f64 v[54:55], v[84:85], s[2:3], v[64:65]
	;; [unrolled: 1-line block ×3, first 2 shown]
	v_add_f64 v[0:1], v[88:89], v[70:71]
	v_add_f64 v[84:85], v[90:91], v[94:95]
	v_fma_f64 v[66:67], v[72:73], s[6:7], v[66:67]
	v_add_f64 v[96:97], v[96:97], v[98:99]
	v_fma_f64 v[76:77], v[76:77], -0.5, v[48:49]
	v_fma_f64 v[58:59], v[2:3], s[2:3], v[86:87]
	v_fma_f64 v[2:3], v[78:79], s[14:15], v[74:75]
	v_add_f64 v[98:99], v[50:51], v[90:91]
	v_add_f64 v[74:75], v[80:81], -v[82:83]
	v_add_f64 v[86:87], v[68:69], -v[92:93]
	v_fma_f64 v[0:1], v[0:1], -0.5, v[50:51]
	v_add_f64 v[82:83], v[82:83], -v[92:93]
	v_add_f64 v[68:69], v[80:81], -v[68:69]
	v_fma_f64 v[50:51], v[84:85], -0.5, v[50:51]
	v_fma_f64 v[64:65], v[96:97], s[2:3], v[66:67]
	v_fma_f64 v[66:67], v[72:73], s[14:15], v[76:77]
	;; [unrolled: 1-line block ×4, first 2 shown]
	v_add_f64 v[76:77], v[98:99], v[88:89]
	v_add_f64 v[74:75], v[74:75], v[86:87]
	v_fma_f64 v[80:81], v[82:83], s[14:15], v[0:1]
	v_add_f64 v[84:85], v[90:91], -v[88:89]
	v_add_f64 v[86:87], v[94:95], -v[70:71]
	v_add_f64 v[48:49], v[100:101], v[92:93]
	v_fma_f64 v[92:93], v[68:69], s[0:1], v[50:51]
	v_add_f64 v[88:89], v[88:89], -v[90:91]
	v_add_f64 v[90:91], v[70:71], -v[94:95]
	v_fma_f64 v[0:1], v[82:83], s[0:1], v[0:1]
	v_fma_f64 v[50:51], v[68:69], s[14:15], v[50:51]
	v_add_f64 v[70:71], v[76:77], v[70:71]
	v_fma_f64 v[66:67], v[78:79], s[6:7], v[66:67]
	v_fma_f64 v[80:81], v[68:69], s[12:13], v[80:81]
	v_add_f64 v[84:85], v[84:85], v[86:87]
	;; [unrolled: 3-line block ×4, first 2 shown]
	v_fma_f64 v[72:73], v[74:75], s[2:3], v[66:67]
	v_fma_f64 v[66:67], v[84:85], s[2:3], v[80:81]
	;; [unrolled: 1-line block ×7, first 2 shown]
	ds_write_b128 v221, v[40:43]
	ds_write_b128 v221, v[44:47] offset:3520
	ds_write_b128 v221, v[56:59] offset:7040
	;; [unrolled: 1-line block ×9, first 2 shown]
	s_waitcnt lgkmcnt(0)
	s_barrier
	ds_read_b128 v[40:43], v221
	ds_read_b128 v[44:47], v221 offset:1760
	v_mov_b32_e32 v0, v105
	v_mov_b32_e32 v54, s5
	s_mul_hi_u32 s5, s8, 0xffffe480
	s_waitcnt lgkmcnt(1)
	v_mul_f64 v[1:2], v[38:39], v[42:43]
	v_mul_f64 v[38:39], v[38:39], v[40:41]
	s_sub_i32 s5, s5, s8
	v_mad_u64_u32 v[48:49], s[0:1], s11, v251, v[0:1]
	v_fma_f64 v[0:1], v[36:37], v[40:41], v[1:2]
	v_mad_u64_u32 v[2:3], s[0:1], s8, v188, 0
	v_mov_b32_e32 v105, v48
	v_fma_f64 v[42:43], v[36:37], v[42:43], -v[38:39]
	v_mad_u64_u32 v[48:49], s[2:3], s9, v188, v[3:4]
	ds_read_b128 v[36:39], v221 offset:8800
	s_mov_b32 s0, 0xdca01dca
	v_mov_b32_e32 v3, v48
	ds_read_b128 v[48:51], v221 offset:7040
	buffer_load_dword v8, off, s[44:47], 0  ; 4-byte Folded Reload
	buffer_load_dword v9, off, s[44:47], 0 offset:4 ; 4-byte Folded Reload
	buffer_load_dword v10, off, s[44:47], 0 offset:8 ; 4-byte Folded Reload
	;; [unrolled: 1-line block ×3, first 2 shown]
	s_mov_b32 s1, 0x3f4dca01
	v_mul_f64 v[40:41], v[0:1], s[0:1]
	v_mul_f64 v[42:43], v[42:43], s[0:1]
	v_lshlrev_b64 v[52:53], 4, v[104:105]
	v_lshlrev_b64 v[2:3], 4, v[2:3]
	v_add_co_u32_e32 v52, vcc, s4, v52
	v_addc_co_u32_e32 v53, vcc, v54, v53, vcc
	v_add_co_u32_e32 v2, vcc, v52, v2
	s_mul_i32 s2, s9, 0x2260
	s_mul_hi_u32 s3, s8, 0x2260
	v_addc_co_u32_e32 v3, vcc, v53, v3, vcc
	s_add_i32 s2, s3, s2
	s_mul_i32 s3, s8, 0x2260
	global_store_dwordx4 v[2:3], v[40:43], off
	s_mul_i32 s4, s9, 0xffffe480
	v_mov_b32_e32 v40, s2
	s_add_i32 s4, s5, s4
	s_mul_i32 s5, s8, 0xffffe480
	v_mov_b32_e32 v54, s4
	s_waitcnt vmcnt(1) lgkmcnt(1)
	v_mul_f64 v[0:1], v[10:11], v[38:39]
	v_mul_f64 v[14:15], v[10:11], v[36:37]
	v_fma_f64 v[0:1], v[8:9], v[36:37], v[0:1]
	v_fma_f64 v[14:15], v[8:9], v[38:39], -v[14:15]
	v_mul_f64 v[36:37], v[235:236], v[44:45]
	v_mul_f64 v[12:13], v[0:1], s[0:1]
	;; [unrolled: 1-line block ×4, first 2 shown]
	v_fma_f64 v[36:37], v[233:234], v[46:47], -v[36:37]
	v_fma_f64 v[38:39], v[233:234], v[44:45], v[0:1]
	v_add_co_u32_e32 v44, vcc, s3, v2
	v_addc_co_u32_e32 v45, vcc, v3, v40, vcc
	ds_read_b128 v[0:3], v221 offset:10560
	global_store_dwordx4 v[44:45], v[12:15], off
	ds_read_b128 v[40:43], v221 offset:3520
	v_mul_f64 v[12:13], v[38:39], s[0:1]
	v_mul_f64 v[14:15], v[36:37], s[0:1]
	ds_read_b128 v[36:39], v221 offset:12320
	s_waitcnt lgkmcnt(2)
	v_mul_f64 v[46:47], v[6:7], v[2:3]
	v_mul_f64 v[6:7], v[6:7], v[0:1]
	v_add_co_u32_e32 v44, vcc, s5, v44
	v_addc_co_u32_e32 v45, vcc, v45, v54, vcc
	global_store_dwordx4 v[44:45], v[12:15], off
	v_fma_f64 v[46:47], v[4:5], v[0:1], v[46:47]
	v_fma_f64 v[6:7], v[4:5], v[2:3], -v[6:7]
	ds_read_b128 v[0:3], v221 offset:5280
	s_waitcnt lgkmcnt(2)
	v_mul_f64 v[52:53], v[254:255], v[42:43]
	v_mul_f64 v[10:11], v[254:255], v[40:41]
	s_waitcnt lgkmcnt(1)
	v_mul_f64 v[14:15], v[30:31], v[36:37]
	v_mul_f64 v[4:5], v[46:47], s[0:1]
	;; [unrolled: 1-line block ×3, first 2 shown]
	v_mov_b32_e32 v46, s2
	v_fma_f64 v[12:13], v[252:253], v[40:41], v[52:53]
	v_fma_f64 v[8:9], v[252:253], v[42:43], -v[10:11]
	v_mul_f64 v[10:11], v[30:31], v[38:39]
	v_add_co_u32_e32 v30, vcc, s3, v44
	v_addc_co_u32_e32 v31, vcc, v45, v46, vcc
	global_store_dwordx4 v[30:31], v[4:7], off
	v_mov_b32_e32 v40, s4
	v_mul_f64 v[4:5], v[12:13], s[0:1]
	v_mul_f64 v[6:7], v[8:9], s[0:1]
	v_fma_f64 v[8:9], v[28:29], v[36:37], v[10:11]
	v_fma_f64 v[10:11], v[28:29], v[38:39], -v[14:15]
	s_waitcnt lgkmcnt(0)
	v_mul_f64 v[12:13], v[34:35], v[2:3]
	v_mul_f64 v[14:15], v[34:35], v[0:1]
	v_add_co_u32_e32 v28, vcc, s5, v30
	v_addc_co_u32_e32 v29, vcc, v31, v40, vcc
	global_store_dwordx4 v[28:29], v[4:7], off
	v_mov_b32_e32 v34, s2
	v_mul_f64 v[4:5], v[8:9], s[0:1]
	v_mul_f64 v[6:7], v[10:11], s[0:1]
	ds_read_b128 v[8:11], v221 offset:14080
	v_fma_f64 v[12:13], v[32:33], v[0:1], v[12:13]
	v_fma_f64 v[14:15], v[32:33], v[2:3], -v[14:15]
	ds_read_b128 v[0:3], v221 offset:15840
	v_add_co_u32_e32 v28, vcc, s3, v28
	s_waitcnt lgkmcnt(1)
	v_mul_f64 v[30:31], v[18:19], v[10:11]
	v_mul_f64 v[18:19], v[18:19], v[8:9]
	v_addc_co_u32_e32 v29, vcc, v29, v34, vcc
	global_store_dwordx4 v[28:29], v[4:7], off
	v_fma_f64 v[8:9], v[16:17], v[8:9], v[30:31]
	v_mul_f64 v[4:5], v[12:13], s[0:1]
	v_mul_f64 v[6:7], v[14:15], s[0:1]
	v_fma_f64 v[10:11], v[16:17], v[10:11], -v[18:19]
	v_mul_f64 v[14:15], v[22:23], v[50:51]
	v_mul_f64 v[16:17], v[22:23], v[48:49]
	s_waitcnt lgkmcnt(0)
	v_mul_f64 v[18:19], v[26:27], v[2:3]
	v_mul_f64 v[22:23], v[26:27], v[0:1]
	v_mov_b32_e32 v13, s4
	v_add_co_u32_e32 v12, vcc, s5, v28
	v_addc_co_u32_e32 v13, vcc, v29, v13, vcc
	global_store_dwordx4 v[12:13], v[4:7], off
	v_mov_b32_e32 v26, s2
	v_mul_f64 v[4:5], v[8:9], s[0:1]
	v_mul_f64 v[6:7], v[10:11], s[0:1]
	v_fma_f64 v[8:9], v[20:21], v[48:49], v[14:15]
	v_fma_f64 v[10:11], v[20:21], v[50:51], -v[16:17]
	v_fma_f64 v[14:15], v[24:25], v[0:1], v[18:19]
	v_fma_f64 v[16:17], v[24:25], v[2:3], -v[22:23]
	v_add_co_u32_e32 v12, vcc, s3, v12
	v_addc_co_u32_e32 v13, vcc, v13, v26, vcc
	v_mul_f64 v[0:1], v[8:9], s[0:1]
	v_mul_f64 v[2:3], v[10:11], s[0:1]
	global_store_dwordx4 v[12:13], v[4:7], off
	v_mov_b32_e32 v9, s4
	v_mul_f64 v[4:5], v[14:15], s[0:1]
	v_mul_f64 v[6:7], v[16:17], s[0:1]
	v_add_co_u32_e32 v8, vcc, s5, v12
	v_addc_co_u32_e32 v9, vcc, v13, v9, vcc
	global_store_dwordx4 v[8:9], v[0:3], off
	s_nop 0
	v_mov_b32_e32 v1, s2
	v_add_co_u32_e32 v0, vcc, s3, v8
	v_addc_co_u32_e32 v1, vcc, v9, v1, vcc
	global_store_dwordx4 v[0:1], v[4:7], off
.LBB0_10:
	s_endpgm
	.section	.rodata,"a",@progbits
	.p2align	6, 0x0
	.amdhsa_kernel bluestein_single_back_len1100_dim1_dp_op_CI_CI
		.amdhsa_group_segment_fixed_size 17600
		.amdhsa_private_segment_fixed_size 88
		.amdhsa_kernarg_size 104
		.amdhsa_user_sgpr_count 6
		.amdhsa_user_sgpr_private_segment_buffer 1
		.amdhsa_user_sgpr_dispatch_ptr 0
		.amdhsa_user_sgpr_queue_ptr 0
		.amdhsa_user_sgpr_kernarg_segment_ptr 1
		.amdhsa_user_sgpr_dispatch_id 0
		.amdhsa_user_sgpr_flat_scratch_init 0
		.amdhsa_user_sgpr_private_segment_size 0
		.amdhsa_uses_dynamic_stack 0
		.amdhsa_system_sgpr_private_segment_wavefront_offset 1
		.amdhsa_system_sgpr_workgroup_id_x 1
		.amdhsa_system_sgpr_workgroup_id_y 0
		.amdhsa_system_sgpr_workgroup_id_z 0
		.amdhsa_system_sgpr_workgroup_info 0
		.amdhsa_system_vgpr_workitem_id 0
		.amdhsa_next_free_vgpr 256
		.amdhsa_next_free_sgpr 48
		.amdhsa_reserve_vcc 1
		.amdhsa_reserve_flat_scratch 0
		.amdhsa_float_round_mode_32 0
		.amdhsa_float_round_mode_16_64 0
		.amdhsa_float_denorm_mode_32 3
		.amdhsa_float_denorm_mode_16_64 3
		.amdhsa_dx10_clamp 1
		.amdhsa_ieee_mode 1
		.amdhsa_fp16_overflow 0
		.amdhsa_exception_fp_ieee_invalid_op 0
		.amdhsa_exception_fp_denorm_src 0
		.amdhsa_exception_fp_ieee_div_zero 0
		.amdhsa_exception_fp_ieee_overflow 0
		.amdhsa_exception_fp_ieee_underflow 0
		.amdhsa_exception_fp_ieee_inexact 0
		.amdhsa_exception_int_div_zero 0
	.end_amdhsa_kernel
	.text
.Lfunc_end0:
	.size	bluestein_single_back_len1100_dim1_dp_op_CI_CI, .Lfunc_end0-bluestein_single_back_len1100_dim1_dp_op_CI_CI
                                        ; -- End function
	.section	.AMDGPU.csdata,"",@progbits
; Kernel info:
; codeLenInByte = 17248
; NumSgprs: 52
; NumVgprs: 256
; ScratchSize: 88
; MemoryBound: 0
; FloatMode: 240
; IeeeMode: 1
; LDSByteSize: 17600 bytes/workgroup (compile time only)
; SGPRBlocks: 6
; VGPRBlocks: 63
; NumSGPRsForWavesPerEU: 52
; NumVGPRsForWavesPerEU: 256
; Occupancy: 1
; WaveLimiterHint : 1
; COMPUTE_PGM_RSRC2:SCRATCH_EN: 1
; COMPUTE_PGM_RSRC2:USER_SGPR: 6
; COMPUTE_PGM_RSRC2:TRAP_HANDLER: 0
; COMPUTE_PGM_RSRC2:TGID_X_EN: 1
; COMPUTE_PGM_RSRC2:TGID_Y_EN: 0
; COMPUTE_PGM_RSRC2:TGID_Z_EN: 0
; COMPUTE_PGM_RSRC2:TIDIG_COMP_CNT: 0
	.type	__hip_cuid_f905e81d678a411a,@object ; @__hip_cuid_f905e81d678a411a
	.section	.bss,"aw",@nobits
	.globl	__hip_cuid_f905e81d678a411a
__hip_cuid_f905e81d678a411a:
	.byte	0                               ; 0x0
	.size	__hip_cuid_f905e81d678a411a, 1

	.ident	"AMD clang version 19.0.0git (https://github.com/RadeonOpenCompute/llvm-project roc-6.4.0 25133 c7fe45cf4b819c5991fe208aaa96edf142730f1d)"
	.section	".note.GNU-stack","",@progbits
	.addrsig
	.addrsig_sym __hip_cuid_f905e81d678a411a
	.amdgpu_metadata
---
amdhsa.kernels:
  - .args:
      - .actual_access:  read_only
        .address_space:  global
        .offset:         0
        .size:           8
        .value_kind:     global_buffer
      - .actual_access:  read_only
        .address_space:  global
        .offset:         8
        .size:           8
        .value_kind:     global_buffer
      - .actual_access:  read_only
        .address_space:  global
        .offset:         16
        .size:           8
        .value_kind:     global_buffer
      - .actual_access:  read_only
        .address_space:  global
        .offset:         24
        .size:           8
        .value_kind:     global_buffer
      - .actual_access:  read_only
        .address_space:  global
        .offset:         32
        .size:           8
        .value_kind:     global_buffer
      - .offset:         40
        .size:           8
        .value_kind:     by_value
      - .address_space:  global
        .offset:         48
        .size:           8
        .value_kind:     global_buffer
      - .address_space:  global
        .offset:         56
        .size:           8
        .value_kind:     global_buffer
      - .address_space:  global
        .offset:         64
        .size:           8
        .value_kind:     global_buffer
      - .address_space:  global
        .offset:         72
        .size:           8
        .value_kind:     global_buffer
      - .offset:         80
        .size:           4
        .value_kind:     by_value
      - .address_space:  global
        .offset:         88
        .size:           8
        .value_kind:     global_buffer
      - .address_space:  global
        .offset:         96
        .size:           8
        .value_kind:     global_buffer
    .group_segment_fixed_size: 17600
    .kernarg_segment_align: 8
    .kernarg_segment_size: 104
    .language:       OpenCL C
    .language_version:
      - 2
      - 0
    .max_flat_workgroup_size: 110
    .name:           bluestein_single_back_len1100_dim1_dp_op_CI_CI
    .private_segment_fixed_size: 88
    .sgpr_count:     52
    .sgpr_spill_count: 0
    .symbol:         bluestein_single_back_len1100_dim1_dp_op_CI_CI.kd
    .uniform_work_group_size: 1
    .uses_dynamic_stack: false
    .vgpr_count:     256
    .vgpr_spill_count: 21
    .wavefront_size: 64
amdhsa.target:   amdgcn-amd-amdhsa--gfx906
amdhsa.version:
  - 1
  - 2
...

	.end_amdgpu_metadata
